;; amdgpu-corpus repo=ROCm/rocFFT kind=compiled arch=gfx1030 opt=O3
	.text
	.amdgcn_target "amdgcn-amd-amdhsa--gfx1030"
	.amdhsa_code_object_version 6
	.protected	bluestein_single_fwd_len1408_dim1_half_op_CI_CI ; -- Begin function bluestein_single_fwd_len1408_dim1_half_op_CI_CI
	.globl	bluestein_single_fwd_len1408_dim1_half_op_CI_CI
	.p2align	8
	.type	bluestein_single_fwd_len1408_dim1_half_op_CI_CI,@function
bluestein_single_fwd_len1408_dim1_half_op_CI_CI: ; @bluestein_single_fwd_len1408_dim1_half_op_CI_CI
; %bb.0:
	s_load_dwordx4 s[12:15], s[4:5], 0x28
	v_mul_u32_u24_e32 v1, 0x175, v0
	v_mov_b32_e32 v9, 0
	s_mov_b32 s0, exec_lo
	v_lshrrev_b32_e32 v1, 16, v1
	v_add_nc_u32_e32 v8, s6, v1
	s_waitcnt lgkmcnt(0)
	v_cmpx_gt_u64_e64 s[12:13], v[8:9]
	s_cbranch_execz .LBB0_10
; %bb.1:
	s_clause 0x1
	s_load_dwordx4 s[8:11], s[4:5], 0x18
	s_load_dwordx4 s[0:3], s[4:5], 0x0
	v_mul_lo_u16 v1, 0xb0, v1
	s_load_dwordx2 s[4:5], s[4:5], 0x38
                                        ; implicit-def: $vgpr91
                                        ; implicit-def: $vgpr92
                                        ; implicit-def: $vgpr90
                                        ; implicit-def: $vgpr93
	v_sub_nc_u16 v0, v0, v1
	v_and_b32_e32 v28, 0xffff, v0
	v_lshlrev_b32_e32 v32, 2, v28
	v_lshlrev_b32_e32 v42, 3, v28
	v_add_nc_u32_e32 v65, 0xb0, v28
	s_waitcnt lgkmcnt(0)
	s_load_dwordx4 s[16:19], s[8:9], 0x0
	s_clause 0x2
	global_load_dword v30, v32, s[0:1]
	global_load_dword v29, v32, s[0:1] offset:704
	global_load_dword v26, v32, s[0:1] offset:1408
	v_add_co_u32 v34, s6, s0, v32
	v_add_co_ci_u32_e64 v35, null, s1, 0, s6
	v_add_nc_u32_e32 v66, 0x210, v28
	v_add_co_u32 v11, vcc_lo, 0x800, v34
	v_add_co_ci_u32_e32 v12, vcc_lo, 0, v35, vcc_lo
	v_add_co_u32 v9, vcc_lo, 0x1000, v34
	v_add_co_ci_u32_e32 v10, vcc_lo, 0, v35, vcc_lo
	s_waitcnt lgkmcnt(0)
	v_mad_u64_u32 v[1:2], null, s18, v8, 0
	v_mad_u64_u32 v[3:4], null, s16, v28, 0
	s_mul_i32 s0, s17, 0xb00
	s_mul_hi_u32 s1, s16, 0xb00
	s_mul_i32 s6, s16, 0xb00
	s_add_i32 s1, s1, s0
	s_mul_hi_u32 s8, s16, 0xfffff7c0
	s_mul_i32 s7, s17, 0xfffff7c0
	v_mad_u64_u32 v[5:6], null, s19, v8, v[2:3]
	s_sub_i32 s0, s8, s16
	s_mul_i32 s8, s16, 0xfffff7c0
	s_add_i32 s0, s0, s7
	v_mad_u64_u32 v[6:7], null, s17, v28, v[4:5]
	v_mov_b32_e32 v2, v5
	v_lshlrev_b64 v[1:2], 2, v[1:2]
	v_mov_b32_e32 v4, v6
	v_add_co_u32 v1, vcc_lo, s14, v1
	v_lshlrev_b64 v[3:4], 2, v[3:4]
	v_add_co_ci_u32_e32 v2, vcc_lo, s15, v2, vcc_lo
	v_add_co_u32 v1, vcc_lo, v1, v3
	v_add_co_ci_u32_e32 v2, vcc_lo, v2, v4, vcc_lo
	v_add_co_u32 v3, vcc_lo, v1, s6
	v_add_co_ci_u32_e32 v4, vcc_lo, s1, v2, vcc_lo
	s_clause 0x1
	global_load_dword v5, v[1:2], off
	global_load_dword v6, v[3:4], off
	v_add_co_u32 v1, vcc_lo, v3, s8
	v_add_co_ci_u32_e32 v2, vcc_lo, s0, v4, vcc_lo
	s_clause 0x1
	global_load_dword v31, v[11:12], off offset:768
	global_load_dword v27, v[11:12], off offset:1472
	v_add_co_u32 v3, vcc_lo, v1, s6
	v_add_co_ci_u32_e32 v4, vcc_lo, s1, v2, vcc_lo
	s_clause 0x1
	global_load_dword v7, v[1:2], off
	global_load_dword v13, v[3:4], off
	v_add_co_u32 v1, vcc_lo, v3, s8
	v_add_co_ci_u32_e32 v2, vcc_lo, s0, v4, vcc_lo
	v_add_co_u32 v3, vcc_lo, v1, s6
	v_add_co_ci_u32_e32 v4, vcc_lo, s1, v2, vcc_lo
	global_load_dword v14, v[1:2], off
	v_add_co_u32 v1, vcc_lo, v3, s8
	v_add_co_ci_u32_e32 v2, vcc_lo, s0, v4, vcc_lo
	global_load_dword v15, v[3:4], off
	v_add_co_u32 v3, vcc_lo, v1, s6
	v_add_co_ci_u32_e32 v4, vcc_lo, s1, v2, vcc_lo
	global_load_dword v25, v[9:10], off offset:128
	global_load_dword v2, v[1:2], off
	global_load_dword v16, v[3:4], off
	s_clause 0x1
	global_load_dword v24, v[11:12], off offset:64
	global_load_dword v23, v[9:10], off offset:832
	v_add_nc_u32_e32 v4, 0xa00, v32
	v_add_nc_u32_e32 v12, 0xd00, v32
	;; [unrolled: 1-line block ×4, first 2 shown]
	s_load_dwordx4 s[8:11], s[10:11], 0x0
	v_cmp_gt_u16_e32 vcc_lo, 0x80, v0
	s_waitcnt vmcnt(12)
	v_lshrrev_b32_e32 v11, 16, v5
	s_waitcnt vmcnt(11)
	v_lshrrev_b32_e32 v19, 16, v6
	v_mul_f16_sdwa v17, v30, v5 dst_sel:DWORD dst_unused:UNUSED_PAD src0_sel:WORD_1 src1_sel:DWORD
	v_mul_f16_sdwa v18, v30, v11 dst_sel:DWORD dst_unused:UNUSED_PAD src0_sel:WORD_1 src1_sel:DWORD
	v_fma_f16 v11, v30, v11, -v17
	s_waitcnt vmcnt(10)
	v_mul_f16_sdwa v17, v31, v6 dst_sel:DWORD dst_unused:UNUSED_PAD src0_sel:WORD_1 src1_sel:DWORD
	v_fmac_f16_e32 v18, v30, v5
	v_mul_f16_sdwa v5, v31, v19 dst_sel:DWORD dst_unused:UNUSED_PAD src0_sel:WORD_1 src1_sel:DWORD
	s_waitcnt vmcnt(8)
	v_lshrrev_b32_e32 v20, 16, v7
	v_mul_f16_sdwa v21, v29, v7 dst_sel:DWORD dst_unused:UNUSED_PAD src0_sel:WORD_1 src1_sel:DWORD
	v_fma_f16 v17, v31, v19, -v17
	s_waitcnt vmcnt(7)
	v_lshrrev_b32_e32 v19, 16, v13
	v_fmac_f16_e32 v5, v31, v6
	v_mul_f16_sdwa v6, v29, v20 dst_sel:DWORD dst_unused:UNUSED_PAD src0_sel:WORD_1 src1_sel:DWORD
	v_pack_b32_f16 v11, v18, v11
	v_fma_f16 v18, v29, v20, -v21
	v_mul_f16_sdwa v20, v27, v13 dst_sel:DWORD dst_unused:UNUSED_PAD src0_sel:WORD_1 src1_sel:DWORD
	v_pack_b32_f16 v5, v5, v17
	v_fmac_f16_e32 v6, v29, v7
	v_mul_f16_sdwa v17, v27, v19 dst_sel:DWORD dst_unused:UNUSED_PAD src0_sel:WORD_1 src1_sel:DWORD
	s_waitcnt vmcnt(6)
	v_lshrrev_b32_e32 v7, 16, v14
	v_fma_f16 v19, v27, v19, -v20
	v_mul_f16_sdwa v20, v26, v14 dst_sel:DWORD dst_unused:UNUSED_PAD src0_sel:WORD_1 src1_sel:DWORD
	v_pack_b32_f16 v6, v6, v18
	v_fmac_f16_e32 v17, v27, v13
	v_mul_f16_sdwa v18, v26, v7 dst_sel:DWORD dst_unused:UNUSED_PAD src0_sel:WORD_1 src1_sel:DWORD
	s_waitcnt vmcnt(5)
	v_lshrrev_b32_e32 v13, 16, v15
	v_fma_f16 v7, v26, v7, -v20
	s_waitcnt vmcnt(4)
	v_mul_f16_sdwa v20, v25, v15 dst_sel:DWORD dst_unused:UNUSED_PAD src0_sel:WORD_1 src1_sel:DWORD
	s_waitcnt vmcnt(2)
	v_lshrrev_b32_e32 v22, 16, v16
	v_fmac_f16_e32 v18, v26, v14
	v_lshrrev_b32_e32 v14, 16, v2
	v_mul_f16_sdwa v21, v25, v13 dst_sel:DWORD dst_unused:UNUSED_PAD src0_sel:WORD_1 src1_sel:DWORD
	v_fma_f16 v13, v25, v13, -v20
	s_waitcnt vmcnt(1)
	v_mul_f16_sdwa v20, v24, v2 dst_sel:DWORD dst_unused:UNUSED_PAD src0_sel:WORD_1 src1_sel:DWORD
	s_waitcnt vmcnt(0)
	v_mul_f16_sdwa v36, v23, v16 dst_sel:DWORD dst_unused:UNUSED_PAD src0_sel:WORD_1 src1_sel:DWORD
	v_mul_f16_sdwa v33, v24, v14 dst_sel:DWORD dst_unused:UNUSED_PAD src0_sel:WORD_1 src1_sel:DWORD
	;; [unrolled: 1-line block ×3, first 2 shown]
	v_fmac_f16_e32 v21, v25, v15
	v_fma_f16 v14, v24, v14, -v20
	v_pack_b32_f16 v15, v17, v19
	v_fmac_f16_e32 v33, v24, v2
	v_fma_f16 v2, v23, v22, -v36
	v_fmac_f16_e32 v37, v23, v16
	v_pack_b32_f16 v13, v21, v13
	v_pack_b32_f16 v7, v18, v7
	v_pack_b32_f16 v14, v33, v14
	v_and_b32_e32 v19, 1, v28
	v_pack_b32_f16 v2, v37, v2
	ds_write_b32 v32, v5 offset:2816
	ds_write2_b32 v32, v11, v6 offset1:176
	ds_write2_b32 v12, v15, v13 offset0:48 offset1:224
	ds_write2_b32 v1, v7, v14 offset0:32 offset1:208
	ds_write_b32 v32, v2 offset:4928
	s_waitcnt lgkmcnt(0)
	s_barrier
	buffer_gl0_inv
	ds_read2_b32 v[5:6], v32 offset1:176
	ds_read2_b32 v[11:12], v4 offset0:64 offset1:240
	ds_read2_b32 v[13:14], v1 offset0:32 offset1:208
	;; [unrolled: 1-line block ×3, first 2 shown]
	v_lshlrev_b32_e32 v2, 1, v28
	v_lshlrev_b32_e32 v20, 2, v19
	s_waitcnt lgkmcnt(0)
	s_barrier
	buffer_gl0_inv
	v_lshlrev_b32_e32 v18, 2, v2
	v_add_nc_u32_e32 v67, 0x2c0, v2
	v_and_or_b32 v22, 0x7fc, v67, v19
	v_lshlrev_b32_e32 v40, 2, v22
	v_pk_add_f16 v17, v5, v11 neg_lo:[0,1] neg_hi:[0,1]
	v_pk_add_f16 v7, v6, v12 neg_lo:[0,1] neg_hi:[0,1]
	;; [unrolled: 1-line block ×4, first 2 shown]
	v_pk_fma_f16 v16, v5, 2.0, v17 op_sel_hi:[1,0,1] neg_lo:[0,0,1] neg_hi:[0,0,1]
	v_pk_fma_f16 v6, v6, 2.0, v7 op_sel_hi:[1,0,1] neg_lo:[0,0,1] neg_hi:[0,0,1]
	;; [unrolled: 1-line block ×4, first 2 shown]
	ds_write2_b64 v42, v[16:17], v[6:7] offset1:176
	ds_write_b64 v18, v[11:12] offset:2816
	ds_write_b64 v42, v[14:15] offset:4224
	s_waitcnt lgkmcnt(0)
	s_barrier
	buffer_gl0_inv
	global_load_dword v36, v20, s[2:3]
	ds_read2_b32 v[11:12], v32 offset1:176
	ds_read2_b32 v[13:14], v4 offset0:64 offset1:240
	ds_read2_b32 v[15:16], v1 offset0:32 offset1:208
	;; [unrolled: 1-line block ×3, first 2 shown]
	v_and_or_b32 v20, 0x1fc, v2, v19
	v_lshlrev_b32_e32 v5, 1, v65
	v_lshlrev_b32_e32 v6, 1, v66
	v_and_b32_e32 v7, 3, v28
	s_waitcnt vmcnt(0) lgkmcnt(0)
	v_lshlrev_b32_e32 v38, 2, v20
	v_and_or_b32 v21, 0x3fc, v5, v19
	v_and_or_b32 v19, 0x7fc, v6, v19
	v_lshlrev_b32_e32 v33, 2, v7
	s_barrier
	buffer_gl0_inv
	v_lshlrev_b32_e32 v39, 2, v21
	v_lshlrev_b32_e32 v41, 2, v19
	v_lshrrev_b32_e32 v19, 16, v11
	v_lshrrev_b32_e32 v20, 16, v13
	;; [unrolled: 1-line block ×8, first 2 shown]
	v_mul_f16_sdwa v46, v20, v36 dst_sel:DWORD dst_unused:UNUSED_PAD src0_sel:DWORD src1_sel:WORD_1
	v_mul_f16_sdwa v47, v13, v36 dst_sel:DWORD dst_unused:UNUSED_PAD src0_sel:DWORD src1_sel:WORD_1
	;; [unrolled: 1-line block ×8, first 2 shown]
	v_fma_f16 v13, v13, v36, -v46
	v_fmac_f16_e32 v47, v20, v36
	v_fma_f16 v14, v14, v36, -v48
	v_fmac_f16_e32 v49, v22, v36
	;; [unrolled: 2-line block ×4, first 2 shown]
	v_sub_f16_e32 v13, v11, v13
	v_sub_f16_e32 v20, v19, v47
	;; [unrolled: 1-line block ×8, first 2 shown]
	v_fma_f16 v11, v11, 2.0, -v13
	v_fma_f16 v19, v19, 2.0, -v20
	v_fma_f16 v12, v12, 2.0, -v14
	v_fma_f16 v21, v21, 2.0, -v22
	v_fma_f16 v15, v15, 2.0, -v17
	v_fma_f16 v37, v37, 2.0, -v43
	v_fma_f16 v16, v16, 2.0, -v18
	v_fma_f16 v44, v44, 2.0, -v45
	v_pack_b32_f16 v13, v13, v20
	v_pack_b32_f16 v11, v11, v19
	;; [unrolled: 1-line block ×8, first 2 shown]
	ds_write2_b32 v38, v11, v13 offset1:2
	ds_write2_b32 v39, v12, v14 offset1:2
	ds_write2_b32 v40, v15, v17 offset1:2
	ds_write2_b32 v41, v16, v18 offset1:2
	s_waitcnt lgkmcnt(0)
	s_barrier
	buffer_gl0_inv
	global_load_dword v37, v33, s[2:3] offset:8
	ds_read2_b32 v[11:12], v32 offset1:176
	ds_read2_b32 v[13:14], v4 offset0:64 offset1:240
	ds_read2_b32 v[15:16], v1 offset0:32 offset1:208
	;; [unrolled: 1-line block ×3, first 2 shown]
	v_and_or_b32 v20, 0x1f8, v2, v7
	v_and_or_b32 v22, 0x7f8, v67, v7
	;; [unrolled: 1-line block ×4, first 2 shown]
	v_and_b32_e32 v19, 7, v28
	v_lshlrev_b32_e32 v44, 2, v20
	v_lshlrev_b32_e32 v46, 2, v22
	;; [unrolled: 1-line block ×5, first 2 shown]
	s_waitcnt vmcnt(0) lgkmcnt(0)
	s_barrier
	buffer_gl0_inv
	v_lshrrev_b32_e32 v7, 16, v11
	v_lshrrev_b32_e32 v20, 16, v13
	v_lshrrev_b32_e32 v22, 16, v14
	v_lshrrev_b32_e32 v48, 16, v17
	v_lshrrev_b32_e32 v50, 16, v18
	v_lshrrev_b32_e32 v21, 16, v12
	v_lshrrev_b32_e32 v43, 16, v15
	v_lshrrev_b32_e32 v49, 16, v16
	v_mul_f16_sdwa v51, v20, v37 dst_sel:DWORD dst_unused:UNUSED_PAD src0_sel:DWORD src1_sel:WORD_1
	v_mul_f16_sdwa v53, v13, v37 dst_sel:DWORD dst_unused:UNUSED_PAD src0_sel:DWORD src1_sel:WORD_1
	;; [unrolled: 1-line block ×8, first 2 shown]
	v_fma_f16 v13, v13, v37, -v51
	v_fmac_f16_e32 v53, v20, v37
	v_fma_f16 v14, v14, v37, -v52
	v_fmac_f16_e32 v54, v22, v37
	;; [unrolled: 2-line block ×4, first 2 shown]
	v_sub_f16_e32 v13, v11, v13
	v_sub_f16_e32 v20, v7, v53
	;; [unrolled: 1-line block ×8, first 2 shown]
	v_fma_f16 v11, v11, 2.0, -v13
	v_fma_f16 v7, v7, 2.0, -v20
	;; [unrolled: 1-line block ×8, first 2 shown]
	v_pack_b32_f16 v13, v13, v20
	v_pack_b32_f16 v7, v11, v7
	;; [unrolled: 1-line block ×8, first 2 shown]
	ds_write2_b32 v44, v7, v13 offset1:4
	ds_write2_b32 v45, v11, v14 offset1:4
	;; [unrolled: 1-line block ×4, first 2 shown]
	s_waitcnt lgkmcnt(0)
	s_barrier
	buffer_gl0_inv
	global_load_dword v43, v33, s[2:3] offset:24
	ds_read2_b32 v[11:12], v4 offset0:64 offset1:240
	ds_read2_b32 v[13:14], v3 offset0:32 offset1:208
	ds_read2_b32 v[15:16], v32 offset1:176
	ds_read2_b32 v[17:18], v1 offset0:32 offset1:208
	v_and_or_b32 v20, 0x1f0, v2, v19
	v_and_or_b32 v21, 0x3f0, v5, v19
	;; [unrolled: 1-line block ×4, first 2 shown]
	v_and_b32_e32 v7, 15, v28
	v_lshlrev_b32_e32 v49, 2, v20
	v_lshlrev_b32_e32 v50, 2, v21
	;; [unrolled: 1-line block ×5, first 2 shown]
	s_waitcnt vmcnt(0) lgkmcnt(0)
	s_barrier
	buffer_gl0_inv
	v_lshrrev_b32_e32 v19, 16, v11
	v_lshrrev_b32_e32 v20, 16, v12
	;; [unrolled: 1-line block ×8, first 2 shown]
	v_mul_f16_sdwa v56, v19, v43 dst_sel:DWORD dst_unused:UNUSED_PAD src0_sel:DWORD src1_sel:WORD_1
	v_mul_f16_sdwa v58, v11, v43 dst_sel:DWORD dst_unused:UNUSED_PAD src0_sel:DWORD src1_sel:WORD_1
	;; [unrolled: 1-line block ×8, first 2 shown]
	v_fma_f16 v11, v11, v43, -v56
	v_fmac_f16_e32 v58, v19, v43
	v_fma_f16 v12, v12, v43, -v57
	v_fmac_f16_e32 v61, v20, v43
	;; [unrolled: 2-line block ×4, first 2 shown]
	v_sub_f16_e32 v11, v15, v11
	v_sub_f16_e32 v19, v48, v58
	;; [unrolled: 1-line block ×8, first 2 shown]
	v_fma_f16 v15, v15, 2.0, -v11
	v_fma_f16 v48, v48, 2.0, -v19
	;; [unrolled: 1-line block ×8, first 2 shown]
	v_pack_b32_f16 v11, v11, v19
	v_pack_b32_f16 v15, v15, v48
	;; [unrolled: 1-line block ×8, first 2 shown]
	ds_write2_b32 v49, v15, v11 offset1:8
	ds_write2_b32 v50, v16, v12 offset1:8
	;; [unrolled: 1-line block ×4, first 2 shown]
	s_waitcnt lgkmcnt(0)
	s_barrier
	buffer_gl0_inv
	global_load_dword v48, v33, s[2:3] offset:56
	ds_read2_b32 v[11:12], v4 offset0:64 offset1:240
	ds_read2_b32 v[13:14], v3 offset0:32 offset1:208
	ds_read2_b32 v[15:16], v32 offset1:176
	ds_read2_b32 v[17:18], v1 offset0:32 offset1:208
	v_and_or_b32 v20, 0x1e0, v2, v7
	v_and_or_b32 v22, 0x3e0, v5, v7
	;; [unrolled: 1-line block ×4, first 2 shown]
	v_and_b32_e32 v19, 31, v28
	v_and_b32_e32 v33, 31, v66
	v_lshlrev_b32_e32 v58, 2, v22
	v_lshlrev_b32_e32 v59, 2, v53
	;; [unrolled: 1-line block ×3, first 2 shown]
	v_and_b32_e32 v61, 31, v65
	v_lshlrev_b32_e32 v56, 2, v20
	v_lshlrev_b32_e32 v21, 2, v19
	;; [unrolled: 1-line block ×3, first 2 shown]
	s_waitcnt vmcnt(0) lgkmcnt(0)
	s_barrier
	buffer_gl0_inv
	v_and_or_b32 v6, 0x7c0, v6, v33
	v_lshrrev_b32_e32 v7, 16, v11
	v_lshrrev_b32_e32 v22, 16, v12
	;; [unrolled: 1-line block ×8, first 2 shown]
	v_mul_f16_sdwa v64, v7, v48 dst_sel:DWORD dst_unused:UNUSED_PAD src0_sel:DWORD src1_sel:WORD_1
	v_mul_f16_sdwa v68, v11, v48 dst_sel:DWORD dst_unused:UNUSED_PAD src0_sel:DWORD src1_sel:WORD_1
	;; [unrolled: 1-line block ×8, first 2 shown]
	v_fma_f16 v11, v11, v48, -v64
	v_fma_f16 v12, v12, v48, -v69
	;; [unrolled: 1-line block ×4, first 2 shown]
	v_fmac_f16_e32 v68, v7, v48
	v_fmac_f16_e32 v70, v22, v48
	;; [unrolled: 1-line block ×4, first 2 shown]
	v_sub_f16_e32 v7, v15, v11
	v_sub_f16_e32 v11, v16, v12
	;; [unrolled: 1-line block ×8, first 2 shown]
	v_fma_f16 v15, v15, 2.0, -v7
	v_fma_f16 v55, v55, 2.0, -v14
	;; [unrolled: 1-line block ×3, first 2 shown]
	v_pack_b32_f16 v7, v7, v14
	v_fma_f16 v14, v57, 2.0, -v22
	v_fma_f16 v17, v17, 2.0, -v12
	v_pack_b32_f16 v11, v11, v22
	v_fma_f16 v22, v62, 2.0, -v53
	v_fma_f16 v18, v18, 2.0, -v13
	v_pack_b32_f16 v12, v12, v53
	v_fma_f16 v53, v63, 2.0, -v54
	v_pack_b32_f16 v15, v15, v55
	v_pack_b32_f16 v14, v16, v14
	v_pack_b32_f16 v16, v17, v22
	v_pack_b32_f16 v13, v13, v54
	v_pack_b32_f16 v17, v18, v53
	ds_write2_b32 v56, v15, v7 offset1:16
	ds_write2_b32 v58, v14, v11 offset1:16
	;; [unrolled: 1-line block ×4, first 2 shown]
	v_lshlrev_b32_e32 v7, 2, v61
	s_waitcnt lgkmcnt(0)
	s_barrier
	buffer_gl0_inv
	s_clause 0x3
	global_load_dword v53, v21, s[2:3] offset:120
	global_load_dword v54, v20, s[2:3] offset:120
	global_load_ushort v57, v20, s[2:3] offset:122
	global_load_ushort v55, v7, s[2:3] offset:120
	ds_read2_b32 v[11:12], v4 offset0:64 offset1:240
	ds_read2_b32 v[21:22], v32 offset1:176
	ds_read2_b32 v[3:4], v3 offset0:32 offset1:208
	ds_read2_b32 v[72:73], v1 offset0:32 offset1:208
	v_and_or_b32 v1, 0x1c0, v2, v19
	v_and_or_b32 v2, 0x3c0, v5, v61
	v_lshlrev_b32_e32 v64, 2, v6
	v_and_or_b32 v5, 0x7c0, v67, v19
	s_waitcnt vmcnt(0) lgkmcnt(0)
	v_lshlrev_b32_e32 v61, 2, v1
	v_lshlrev_b32_e32 v62, 2, v2
	s_barrier
	v_lshlrev_b32_e32 v63, 2, v5
	buffer_gl0_inv
	v_lshrrev_b32_e32 v0, 16, v11
	v_lshrrev_b32_e32 v2, 16, v12
	;; [unrolled: 1-line block ×8, first 2 shown]
	v_mul_f16_sdwa v14, v11, v53 dst_sel:DWORD dst_unused:UNUSED_PAD src0_sel:DWORD src1_sel:WORD_1
	v_mul_f16_sdwa v15, v0, v53 dst_sel:DWORD dst_unused:UNUSED_PAD src0_sel:DWORD src1_sel:WORD_1
	;; [unrolled: 1-line block ×6, first 2 shown]
	v_mul_f16_e32 v20, v13, v57
	v_mul_f16_e32 v70, v4, v57
	v_fmac_f16_e32 v14, v0, v53
	v_fma_f16 v0, v11, v53, -v15
	v_fma_f16 v11, v12, v55, -v16
	v_fmac_f16_e32 v17, v2, v55
	v_fmac_f16_e32 v18, v6, v53
	v_fma_f16 v2, v3, v53, -v19
	v_fma_f16 v3, v4, v54, -v20
	v_fmac_f16_e32 v70, v13, v54
	v_sub_f16_e32 v69, v1, v14
	v_sub_f16_e32 v16, v21, v0
	v_sub_f16_e32 v14, v22, v11
	v_sub_f16_e32 v71, v5, v17
	v_sub_f16_e32 v68, v7, v18
	v_sub_f16_e32 v18, v72, v2
	v_sub_f16_e32 v20, v73, v3
	v_sub_f16_e32 v70, v33, v70
	v_fma_f16 v15, v21, 2.0, -v16
	v_fma_f16 v75, v1, 2.0, -v69
	;; [unrolled: 1-line block ×8, first 2 shown]
	v_pack_b32_f16 v0, v16, v69
	v_pack_b32_f16 v4, v15, v75
	;; [unrolled: 1-line block ×8, first 2 shown]
	ds_write2_b32 v61, v4, v0 offset1:32
	ds_write2_b32 v62, v5, v1 offset1:32
	;; [unrolled: 1-line block ×4, first 2 shown]
	s_waitcnt lgkmcnt(0)
	s_barrier
	buffer_gl0_inv
                                        ; implicit-def: $vgpr21
	s_and_saveexec_b32 s0, vcc_lo
	s_cbranch_execz .LBB0_3
; %bb.2:
	ds_read2st64_b32 v[15:16], v32 offset1:2
	ds_read2st64_b32 v[13:14], v32 offset0:4 offset1:6
	ds_read2st64_b32 v[17:18], v32 offset0:8 offset1:10
	;; [unrolled: 1-line block ×4, first 2 shown]
	ds_read_b32 v90, v32 offset:5120
	s_waitcnt lgkmcnt(5)
	v_lshrrev_b32_e32 v75, 16, v15
	v_lshrrev_b32_e32 v69, 16, v16
	s_waitcnt lgkmcnt(4)
	v_lshrrev_b32_e32 v83, 16, v13
	v_lshrrev_b32_e32 v71, 16, v14
	;; [unrolled: 3-line block ×5, first 2 shown]
	s_waitcnt lgkmcnt(0)
	v_lshrrev_b32_e32 v93, 16, v90
.LBB0_3:
	s_or_b32 exec_lo, exec_lo, s0
	v_and_b32_e32 v33, 63, v28
	v_lshlrev_b32_e32 v74, 3, v65
	v_lshlrev_b32_e32 v72, 3, v66
	;; [unrolled: 1-line block ×3, first 2 shown]
	v_mad_u64_u32 v[11:12], null, v33, 40, s[2:3]
	s_clause 0x2
	global_load_dwordx4 v[4:7], v[11:12], off offset:248
	global_load_dwordx4 v[0:3], v[11:12], off offset:264
	global_load_dwordx2 v[11:12], v[11:12], off offset:280
	s_waitcnt vmcnt(0)
	s_barrier
	buffer_gl0_inv
	v_mul_f16_sdwa v85, v69, v4 dst_sel:DWORD dst_unused:UNUSED_PAD src0_sel:DWORD src1_sel:WORD_1
	v_mul_f16_sdwa v82, v16, v4 dst_sel:DWORD dst_unused:UNUSED_PAD src0_sel:DWORD src1_sel:WORD_1
	;; [unrolled: 1-line block ×9, first 2 shown]
	v_fma_f16 v88, v16, v4, -v85
	v_fmac_f16_e32 v82, v69, v4
	v_fma_f16 v16, v90, v12, -v101
	v_fmac_f16_e32 v65, v93, v12
	v_mul_f16_sdwa v94, v71, v6 dst_sel:DWORD dst_unused:UNUSED_PAD src0_sel:DWORD src1_sel:WORD_1
	v_mul_f16_sdwa v80, v14, v6 dst_sel:DWORD dst_unused:UNUSED_PAD src0_sel:DWORD src1_sel:WORD_1
	v_mul_f16_sdwa v79, v17, v7 dst_sel:DWORD dst_unused:UNUSED_PAD src0_sel:DWORD src1_sel:WORD_1
	v_mul_f16_sdwa v96, v68, v0 dst_sel:DWORD dst_unused:UNUSED_PAD src0_sel:DWORD src1_sel:WORD_1
	v_mul_f16_sdwa v99, v91, v3 dst_sel:DWORD dst_unused:UNUSED_PAD src0_sel:DWORD src1_sel:WORD_1
	v_mul_f16_sdwa v67, v21, v3 dst_sel:DWORD dst_unused:UNUSED_PAD src0_sel:DWORD src1_sel:WORD_1
	v_fma_f16 v87, v13, v5, -v86
	v_fmac_f16_e32 v81, v83, v5
	v_fma_f16 v85, v17, v7, -v95
	v_fma_f16 v17, v22, v11, -v100
	v_fmac_f16_e32 v66, v92, v11
	v_sub_f16_e32 v126, v88, v16
	v_sub_f16_e32 v131, v82, v65
	v_mul_f16_sdwa v78, v18, v0 dst_sel:DWORD dst_unused:UNUSED_PAD src0_sel:DWORD src1_sel:WORD_1
	v_mul_f16_sdwa v97, v89, v1 dst_sel:DWORD dst_unused:UNUSED_PAD src0_sel:DWORD src1_sel:WORD_1
	;; [unrolled: 1-line block ×5, first 2 shown]
	v_fma_f16 v86, v14, v6, -v94
	v_fmac_f16_e32 v80, v71, v6
	v_fmac_f16_e32 v79, v84, v7
	v_fma_f16 v84, v18, v0, -v96
	v_fma_f16 v18, v21, v3, -v99
	v_fmac_f16_e32 v67, v91, v3
	v_add_f16_e32 v118, v88, v16
	v_add_f16_e32 v135, v82, v65
	v_sub_f16_e32 v124, v87, v17
	v_sub_f16_e32 v130, v81, v66
	v_mul_f16_e32 v90, 0xb853, v131
	v_mul_f16_e32 v94, 0xb853, v126
	;; [unrolled: 1-line block ×6, first 2 shown]
	v_fma_f16 v83, v19, v1, -v97
	v_fmac_f16_e32 v77, v89, v1
	v_fma_f16 v19, v20, v2, -v98
	v_fmac_f16_e32 v76, v70, v2
	v_add_f16_e32 v113, v87, v17
	v_add_f16_e32 v134, v81, v66
	v_sub_f16_e32 v129, v80, v67
	v_sub_f16_e32 v125, v86, v18
	v_mul_f16_e32 v89, 0xbb47, v130
	v_mul_f16_e32 v92, 0xbb47, v124
	;; [unrolled: 1-line block ×6, first 2 shown]
	v_fmamk_f16 v13, v118, 0x36a6, v102
	v_fmamk_f16 v14, v118, 0xb08e, v114
	;; [unrolled: 1-line block ×3, first 2 shown]
	v_fma_f16 v141, v135, 0x3abb, -v94
	v_fma_f16 v143, v135, 0x36a6, -v108
	;; [unrolled: 1-line block ×3, first 2 shown]
	v_fmac_f16_e32 v78, v68, v0
	v_add_f16_e32 v112, v86, v18
	v_sub_f16_e32 v128, v79, v76
	v_add_f16_e32 v136, v80, v67
	v_sub_f16_e32 v119, v85, v19
	v_mul_f16_e32 v100, 0x3482, v129
	v_mul_f16_e32 v111, 0x3b47, v129
	;; [unrolled: 1-line block ×6, first 2 shown]
	v_fmamk_f16 v21, v113, 0xb93d, v103
	v_fmamk_f16 v68, v113, 0xbbad, v115
	;; [unrolled: 1-line block ×3, first 2 shown]
	v_fma_f16 v144, v134, 0x36a6, -v92
	v_fma_f16 v145, v134, 0xb93d, -v109
	;; [unrolled: 1-line block ×3, first 2 shown]
	v_add_f16_e32 v13, v15, v13
	v_add_f16_e32 v14, v15, v14
	;; [unrolled: 1-line block ×7, first 2 shown]
	v_sub_f16_e32 v127, v78, v77
	v_add_f16_e32 v133, v79, v76
	v_sub_f16_e32 v117, v84, v83
	v_mul_f16_e32 v98, 0x3beb, v128
	v_mul_f16_e32 v105, 0xb853, v128
	;; [unrolled: 1-line block ×6, first 2 shown]
	v_fmamk_f16 v69, v112, 0xbbad, v100
	v_fmamk_f16 v70, v112, 0x36a6, v111
	;; [unrolled: 1-line block ×3, first 2 shown]
	v_fma_f16 v149, v136, 0xb08e, -v97
	v_fma_f16 v150, v136, 0xbbad, -v107
	;; [unrolled: 1-line block ×3, first 2 shown]
	v_add_f16_e32 v13, v21, v13
	v_add_f16_e32 v14, v68, v14
	;; [unrolled: 1-line block ×8, first 2 shown]
	v_mul_f16_e32 v20, 0x3853, v127
	v_mul_f16_e32 v99, 0xba0c, v127
	;; [unrolled: 1-line block ×6, first 2 shown]
	v_fmamk_f16 v71, v110, 0xb08e, v98
	v_fmamk_f16 v137, v110, 0x3abb, v105
	;; [unrolled: 1-line block ×3, first 2 shown]
	v_fma_f16 v153, v133, 0xb93d, -v96
	v_fma_f16 v154, v133, 0xb08e, -v106
	;; [unrolled: 1-line block ×3, first 2 shown]
	v_add_f16_e32 v13, v69, v13
	v_add_f16_e32 v14, v70, v14
	;; [unrolled: 1-line block ×6, first 2 shown]
	v_fmamk_f16 v139, v104, 0x3abb, v20
	v_fmamk_f16 v140, v104, 0xb93d, v99
	v_fmamk_f16 v156, v104, 0xbbad, v22
	v_fma_f16 v157, v132, 0xbbad, -v93
	v_fma_f16 v158, v132, 0x3abb, -v101
	v_fma_f16 v159, v132, 0xb93d, -v116
	v_add_f16_e32 v13, v71, v13
	v_add_f16_e32 v71, v137, v14
	;; [unrolled: 1-line block ×12, first 2 shown]
	v_lshrrev_b32_e32 v21, 6, v28
	s_and_saveexec_b32 s0, vcc_lo
	s_cbranch_execz .LBB0_5
; %bb.4:
	v_mul_f16_e32 v156, 0xb93d, v135
	v_mul_f16_e32 v162, 0xb08e, v134
	;; [unrolled: 1-line block ×5, first 2 shown]
	v_fmamk_f16 v161, v126, 0x3a0c, v156
	v_fmamk_f16 v166, v124, 0xbbeb, v162
	;; [unrolled: 1-line block ×3, first 2 shown]
	v_mul_f16_e32 v139, 0x36a6, v118
	v_mul_f16_e32 v171, 0xbbad, v133
	v_add_f16_e32 v161, v75, v161
	v_fmamk_f16 v176, v113, 0xb08e, v174
	v_add_f16_e32 v173, v15, v173
	v_mul_f16_e32 v177, 0xb853, v129
	v_mul_f16_e32 v145, 0xb93d, v113
	v_add_f16_e32 v161, v166, v161
	v_fmamk_f16 v166, v125, 0x3853, v167
	v_add_f16_e32 v173, v176, v173
	v_fmamk_f16 v176, v112, 0x3abb, v177
	v_mul_f16_e32 v178, 0xb482, v128
	v_sub_f16_e32 v102, v139, v102
	v_add_f16_e32 v161, v166, v161
	v_fmamk_f16 v166, v119, 0x3482, v171
	v_mul_f16_e32 v138, 0x3abb, v135
	v_mul_f16_e32 v140, 0x36a6, v135
	;; [unrolled: 1-line block ×4, first 2 shown]
	v_add_f16_e32 v161, v166, v161
	v_mul_f16_e32 v166, 0x36a6, v132
	v_mul_f16_e32 v135, 0xbbad, v135
	v_add_f16_e32 v173, v176, v173
	v_fmamk_f16 v176, v110, 0xbbad, v178
	v_add_f16_e32 v102, v15, v102
	v_sub_f16_e32 v103, v145, v103
	v_add_f16_e32 v88, v15, v88
	v_add_f16_e32 v82, v75, v82
	v_mul_f16_e32 v144, 0x36a6, v134
	v_mul_f16_e32 v146, 0xb93d, v134
	;; [unrolled: 1-line block ×4, first 2 shown]
	v_fmamk_f16 v179, v117, 0xbb47, v166
	v_fmamk_f16 v180, v126, 0x3482, v135
	v_mul_f16_e32 v134, 0x3abb, v134
	v_add_f16_e32 v173, v176, v173
	v_mul_f16_e32 v176, 0x3b47, v127
	v_mul_f16_e32 v131, 0xb482, v131
	v_add_f16_e32 v102, v103, v102
	v_sub_f16_e32 v100, v151, v100
	v_add_f16_e32 v87, v88, v87
	v_add_f16_e32 v81, v82, v81
	v_mul_f16_e32 v137, 0x3abb, v118
	v_mul_f16_e32 v141, 0xb08e, v118
	;; [unrolled: 1-line block ×5, first 2 shown]
	v_add_f16_e32 v161, v179, v161
	v_add_f16_e32 v179, v75, v180
	v_fmamk_f16 v180, v124, 0xb853, v134
	v_mul_f16_e32 v136, 0xb93d, v136
	v_fmamk_f16 v181, v104, 0x36a6, v176
	v_fmamk_f16 v182, v118, 0xbbad, v131
	v_mul_f16_e32 v130, 0x3853, v130
	v_fma_f16 v131, v118, 0xbbad, -v131
	v_add_f16_e32 v88, v100, v102
	v_sub_f16_e32 v82, v158, v98
	v_add_f16_e32 v86, v87, v86
	v_add_f16_e32 v80, v81, v80
	v_fmac_f16_e32 v135, 0xb482, v126
	v_mul_f16_e32 v157, 0xb93d, v133
	v_mul_f16_e32 v159, 0xb08e, v133
	v_mul_f16_e32 v163, 0x3abb, v133
	v_add_f16_e32 v179, v180, v179
	v_fmamk_f16 v180, v125, 0x3a0c, v136
	v_mul_f16_e32 v133, 0x36a6, v133
	v_add_f16_e32 v173, v181, v173
	v_add_f16_e32 v181, v15, v182
	v_fmamk_f16 v182, v113, 0x3abb, v130
	v_add_f16_e32 v131, v15, v131
	v_fma_f16 v130, v113, 0x3abb, -v130
	v_fmac_f16_e32 v156, 0xba0c, v126
	v_fma_f16 v118, v118, 0xb93d, -v170
	v_add_f16_e32 v121, v121, v142
	v_sub_f16_e32 v114, v141, v114
	v_add_f16_e32 v108, v108, v140
	v_add_f16_e32 v87, v94, v138
	;; [unrolled: 1-line block ×3, first 2 shown]
	v_sub_f16_e32 v82, v137, v90
	v_add_f16_e32 v85, v86, v85
	v_add_f16_e32 v79, v80, v79
	;; [unrolled: 1-line block ×3, first 2 shown]
	v_fmac_f16_e32 v134, 0x3853, v124
	v_mul_f16_e32 v143, 0x36a6, v113
	v_mul_f16_e32 v147, 0xbbad, v113
	v_mul_f16_e32 v165, 0xbbad, v132
	v_mul_f16_e32 v169, 0x3abb, v132
	v_mul_f16_e32 v175, 0xb93d, v132
	v_add_f16_e32 v179, v180, v179
	v_fmamk_f16 v180, v119, 0xbb47, v133
	v_mul_f16_e32 v129, 0xba0c, v129
	v_mul_f16_e32 v132, 0xb08e, v132
	v_fmac_f16_e32 v133, 0x3b47, v119
	v_add_f16_e32 v126, v130, v131
	v_add_f16_e32 v131, v75, v156
	v_fmac_f16_e32 v171, 0xb482, v119
	v_add_f16_e32 v118, v15, v118
	v_fma_f16 v113, v113, 0xb08e, -v174
	v_add_f16_e32 v119, v75, v121
	v_add_f16_e32 v121, v123, v148
	;; [unrolled: 1-line block ×10, first 2 shown]
	v_fmac_f16_e32 v136, 0xba0c, v125
	v_mul_f16_e32 v149, 0xb08e, v112
	v_mul_f16_e32 v153, 0x36a6, v112
	v_add_f16_e32 v179, v180, v179
	v_add_f16_e32 v180, v182, v181
	v_fmamk_f16 v181, v112, 0xb93d, v129
	v_mul_f16_e32 v128, 0x3b47, v128
	v_fmamk_f16 v182, v117, 0x3beb, v132
	v_fma_f16 v129, v112, 0xb93d, -v129
	v_fmac_f16_e32 v132, 0xbbeb, v117
	v_fmac_f16_e32 v166, 0x3b47, v117
	v_add_f16_e32 v113, v113, v118
	v_fma_f16 v112, v112, 0x3abb, -v177
	v_add_f16_e32 v117, v121, v119
	v_add_f16_e32 v118, v122, v154
	v_sub_f16_e32 v84, v143, v89
	v_add_f16_e32 v75, v80, v75
	v_add_f16_e32 v80, v82, v83
	v_add_f16_e32 v77, v78, v77
	v_add_f16_e32 v134, v136, v134
	v_mul_f16_e32 v155, 0xb93d, v110
	v_mul_f16_e32 v160, 0x3abb, v110
	v_add_f16_e32 v180, v181, v180
	v_fmamk_f16 v181, v110, 0x36a6, v128
	v_fmac_f16_e32 v162, 0x3beb, v124
	v_add_f16_e32 v124, v129, v126
	v_fma_f16 v126, v110, 0x36a6, -v128
	v_add_f16_e32 v112, v112, v113
	v_fma_f16 v110, v110, 0xbbad, -v178
	v_add_f16_e32 v113, v118, v117
	v_add_f16_e32 v117, v120, v163
	v_sub_f16_e32 v115, v147, v115
	v_add_f16_e32 v109, v109, v146
	v_add_f16_e32 v79, v97, v150
	;; [unrolled: 1-line block ×3, first 2 shown]
	v_sub_f16_e32 v78, v149, v95
	v_add_f16_e32 v19, v80, v19
	v_add_f16_e32 v76, v77, v76
	v_add_f16_e32 v130, v133, v134
	v_mul_f16_e32 v164, 0xbbad, v104
	v_add_f16_e32 v110, v110, v112
	v_add_f16_e32 v112, v117, v113
	;; [unrolled: 1-line block ×3, first 2 shown]
	v_sub_f16_e32 v111, v153, v111
	v_add_f16_e32 v108, v109, v108
	v_add_f16_e32 v107, v107, v152
	;; [unrolled: 1-line block ×5, first 2 shown]
	v_sub_f16_e32 v77, v155, v91
	v_add_f16_e32 v18, v19, v18
	v_add_f16_e32 v67, v76, v67
	;; [unrolled: 1-line block ×4, first 2 shown]
	v_fmac_f16_e32 v167, 0xb853, v125
	v_mul_f16_e32 v168, 0x3abb, v104
	v_mul_f16_e32 v172, 0xb93d, v104
	v_add_f16_e32 v111, v111, v113
	v_sub_f16_e32 v105, v160, v105
	v_add_f16_e32 v107, v107, v108
	v_add_f16_e32 v106, v106, v159
	;; [unrolled: 1-line block ×6, first 2 shown]
	v_mul_u32_u24_e32 v18, 0x2c0, v21
	v_add_f16_e32 v66, v67, v66
	v_sub_f16_e32 v22, v164, v22
	v_mul_f16_e32 v127, 0xbbeb, v127
	v_add_f16_e32 v124, v126, v124
	v_add_f16_e32 v126, v167, v130
	;; [unrolled: 1-line block ×4, first 2 shown]
	v_sub_f16_e32 v99, v172, v99
	v_add_f16_e32 v103, v106, v107
	v_add_f16_e32 v98, v101, v169
	;; [unrolled: 1-line block ×4, first 2 shown]
	v_or_b32_e32 v17, v18, v33
	v_add_f16_e32 v18, v66, v65
	v_add_f16_e32 v15, v22, v15
	v_sub_f16_e32 v20, v168, v20
	v_fmamk_f16 v136, v104, 0xb08e, v127
	v_fma_f16 v125, v104, 0xb08e, -v127
	v_add_f16_e32 v123, v171, v126
	v_fma_f16 v104, v104, 0x36a6, -v176
	v_add_f16_e32 v135, v181, v180
	v_add_f16_e32 v109, v114, v112
	;; [unrolled: 1-line block ×3, first 2 shown]
	v_lshlrev_b32_e32 v17, 2, v17
	v_pack_b32_f16 v16, v16, v18
	v_pack_b32_f16 v15, v15, v19
	v_add_f16_e32 v18, v20, v81
	v_add_f16_e32 v19, v99, v105
	;; [unrolled: 1-line block ×7, first 2 shown]
	ds_write2st64_b32 v17, v16, v15 offset1:1
	v_pack_b32_f16 v15, v18, v22
	v_pack_b32_f16 v16, v19, v109
	;; [unrolled: 1-line block ×6, first 2 shown]
	v_perm_b32 v65, v68, v13, 0x5040100
	v_perm_b32 v66, v69, v14, 0x5040100
	;; [unrolled: 1-line block ×3, first 2 shown]
	ds_write2st64_b32 v17, v15, v16 offset0:2 offset1:3
	ds_write2st64_b32 v17, v18, v19 offset0:4 offset1:5
	;; [unrolled: 1-line block ×4, first 2 shown]
	ds_write_b32 v17, v67 offset:2560
.LBB0_5:
	s_or_b32 exec_lo, exec_lo, s0
	v_add_co_u32 v17, s0, s2, v32
	v_add_co_ci_u32_e64 v18, null, s3, 0, s0
	s_waitcnt lgkmcnt(0)
	v_add_co_u32 v15, s0, 0x800, v17
	v_add_co_ci_u32_e64 v16, s0, 0, v18, s0
	v_add_co_u32 v17, s0, 0x1000, v17
	v_add_co_ci_u32_e64 v18, s0, 0, v18, s0
	s_barrier
	buffer_gl0_inv
	s_clause 0x3
	global_load_dword v22, v[15:16], off offset:760
	global_load_dword v65, v[15:16], off offset:1464
	global_load_dword v66, v[17:18], off offset:120
	global_load_dword v67, v[17:18], off offset:824
	v_add_nc_u32_e32 v17, 0xa00, v32
	v_add_nc_u32_e32 v16, 0x500, v32
	;; [unrolled: 1-line block ×3, first 2 shown]
	ds_read2_b32 v[18:19], v32 offset1:176
	ds_read2_b32 v[75:76], v17 offset0:64 offset1:240
	ds_read2_b32 v[77:78], v16 offset0:32 offset1:208
	;; [unrolled: 1-line block ×3, first 2 shown]
	v_add_nc_u32_e32 v20, 0xd00, v32
	s_waitcnt lgkmcnt(3)
	v_lshrrev_b32_e32 v81, 16, v18
	s_waitcnt lgkmcnt(2)
	v_lshrrev_b32_e32 v83, 16, v75
	v_lshrrev_b32_e32 v84, 16, v76
	s_waitcnt lgkmcnt(0)
	v_lshrrev_b32_e32 v86, 16, v79
	v_lshrrev_b32_e32 v88, 16, v80
	;; [unrolled: 1-line block ×5, first 2 shown]
	s_waitcnt vmcnt(3)
	v_mul_f16_sdwa v89, v83, v22 dst_sel:DWORD dst_unused:UNUSED_PAD src0_sel:DWORD src1_sel:WORD_1
	v_mul_f16_sdwa v90, v75, v22 dst_sel:DWORD dst_unused:UNUSED_PAD src0_sel:DWORD src1_sel:WORD_1
	s_waitcnt vmcnt(2)
	v_mul_f16_sdwa v91, v84, v65 dst_sel:DWORD dst_unused:UNUSED_PAD src0_sel:DWORD src1_sel:WORD_1
	v_mul_f16_sdwa v92, v76, v65 dst_sel:DWORD dst_unused:UNUSED_PAD src0_sel:DWORD src1_sel:WORD_1
	;; [unrolled: 3-line block ×4, first 2 shown]
	v_fma_f16 v75, v75, v22, -v89
	v_fmac_f16_e32 v90, v83, v22
	v_fma_f16 v76, v76, v65, -v91
	v_fmac_f16_e32 v92, v84, v65
	;; [unrolled: 2-line block ×4, first 2 shown]
	v_sub_f16_e32 v75, v18, v75
	v_sub_f16_e32 v83, v81, v90
	;; [unrolled: 1-line block ×8, first 2 shown]
	v_fma_f16 v18, v18, 2.0, -v75
	v_fma_f16 v81, v81, 2.0, -v83
	;; [unrolled: 1-line block ×8, first 2 shown]
	v_pack_b32_f16 v75, v75, v83
	v_pack_b32_f16 v18, v18, v81
	;; [unrolled: 1-line block ×8, first 2 shown]
	ds_write_b32 v32, v75 offset:2816
	ds_write2_b32 v32, v18, v19 offset1:176
	ds_write2_b32 v20, v76, v79 offset0:48 offset1:224
	ds_write2_b32 v16, v77, v78 offset0:32 offset1:208
	ds_write_b32 v32, v80 offset:4928
	s_waitcnt lgkmcnt(0)
	s_barrier
	buffer_gl0_inv
	global_load_dword v77, v[9:10], off offset:1536
	v_add_co_u32 v9, s0, 0x1600, v34
	v_add_co_ci_u32_e64 v10, s0, 0, v35, s0
	v_add_co_u32 v18, s0, 0x2000, v34
	v_add_co_ci_u32_e64 v19, s0, 0, v35, s0
	global_load_dword v78, v[9:10], off offset:704
	v_add_co_u32 v75, s0, 0x1800, v34
	v_add_co_ci_u32_e64 v76, s0, 0, v35, s0
	v_add_co_u32 v34, s0, 0x2800, v34
	v_add_co_ci_u32_e64 v35, s0, 0, v35, s0
	s_clause 0x5
	global_load_dword v79, v[18:19], off offset:256
	global_load_dword v80, v[18:19], off offset:960
	;; [unrolled: 1-line block ×6, first 2 shown]
	ds_read2_b32 v[9:10], v32 offset1:176
	s_waitcnt lgkmcnt(0)
	v_lshrrev_b32_e32 v18, 16, v9
	s_waitcnt vmcnt(7)
	v_mul_f16_sdwa v19, v18, v77 dst_sel:DWORD dst_unused:UNUSED_PAD src0_sel:DWORD src1_sel:WORD_1
	v_mul_f16_sdwa v34, v9, v77 dst_sel:DWORD dst_unused:UNUSED_PAD src0_sel:DWORD src1_sel:WORD_1
	v_fma_f16 v9, v9, v77, -v19
	v_fmac_f16_e32 v34, v18, v77
	s_waitcnt vmcnt(6)
	v_mul_f16_sdwa v85, v10, v78 dst_sel:DWORD dst_unused:UNUSED_PAD src0_sel:DWORD src1_sel:WORD_1
	v_pack_b32_f16 v9, v9, v34
	ds_write_b32 v32, v9
	ds_read2_b32 v[18:19], v17 offset0:64 offset1:240
	ds_read2_b32 v[34:35], v16 offset0:32 offset1:208
	ds_read2_b32 v[75:76], v15 offset0:32 offset1:208
	v_lshrrev_b32_e32 v9, 16, v10
	v_mul_f16_sdwa v77, v9, v78 dst_sel:DWORD dst_unused:UNUSED_PAD src0_sel:DWORD src1_sel:WORD_1
	v_fmac_f16_e32 v85, v9, v78
	v_add_nc_u32_e32 v9, 0x200, v32
	v_fma_f16 v10, v10, v78, -v77
	v_add_nc_u32_e32 v77, 0x800, v32
	v_pack_b32_f16 v10, v10, v85
	s_waitcnt lgkmcnt(2)
	v_lshrrev_b32_e32 v78, 16, v18
	s_waitcnt vmcnt(5)
	v_mul_f16_sdwa v85, v18, v79 dst_sel:DWORD dst_unused:UNUSED_PAD src0_sel:DWORD src1_sel:WORD_1
	v_lshrrev_b32_e32 v86, 16, v19
	s_waitcnt vmcnt(4)
	v_mul_f16_sdwa v87, v19, v80 dst_sel:DWORD dst_unused:UNUSED_PAD src0_sel:DWORD src1_sel:WORD_1
	s_waitcnt lgkmcnt(1)
	v_lshrrev_b32_e32 v88, 16, v34
	s_waitcnt vmcnt(0)
	v_mul_f16_sdwa v89, v34, v84 dst_sel:DWORD dst_unused:UNUSED_PAD src0_sel:DWORD src1_sel:WORD_1
	s_waitcnt lgkmcnt(0)
	v_lshrrev_b32_e32 v90, 16, v75
	v_mul_f16_sdwa v91, v75, v81 dst_sel:DWORD dst_unused:UNUSED_PAD src0_sel:DWORD src1_sel:WORD_1
	v_lshrrev_b32_e32 v92, 16, v35
	v_mul_f16_sdwa v93, v35, v82 dst_sel:DWORD dst_unused:UNUSED_PAD src0_sel:DWORD src1_sel:WORD_1
	;; [unrolled: 2-line block ×3, first 2 shown]
	v_fmac_f16_e32 v85, v78, v79
	v_mul_f16_sdwa v78, v86, v80 dst_sel:DWORD dst_unused:UNUSED_PAD src0_sel:DWORD src1_sel:WORD_1
	v_fmac_f16_e32 v87, v86, v80
	v_mul_f16_sdwa v86, v88, v84 dst_sel:DWORD dst_unused:UNUSED_PAD src0_sel:DWORD src1_sel:WORD_1
	;; [unrolled: 2-line block ×4, first 2 shown]
	v_mul_f16_sdwa v95, v76, v83 dst_sel:DWORD dst_unused:UNUSED_PAD src0_sel:DWORD src1_sel:WORD_1
	v_fmac_f16_e32 v93, v92, v82
	v_mul_f16_sdwa v92, v94, v83 dst_sel:DWORD dst_unused:UNUSED_PAD src0_sel:DWORD src1_sel:WORD_1
	v_fma_f16 v34, v34, v84, -v86
	v_fma_f16 v19, v19, v80, -v78
	;; [unrolled: 1-line block ×5, first 2 shown]
	v_fmac_f16_e32 v95, v94, v83
	v_fma_f16 v76, v76, v83, -v92
	v_pack_b32_f16 v34, v34, v89
	v_pack_b32_f16 v19, v19, v87
	;; [unrolled: 1-line block ×6, first 2 shown]
	ds_write2_b32 v9, v10, v34 offset0:48 offset1:224
	ds_write2_b32 v20, v19, v75 offset0:48 offset1:224
	;; [unrolled: 1-line block ×3, first 2 shown]
	ds_write_b32 v32, v76 offset:4928
	s_waitcnt lgkmcnt(0)
	s_barrier
	buffer_gl0_inv
	ds_read2_b32 v[9:10], v32 offset1:176
	ds_read2_b32 v[18:19], v17 offset0:64 offset1:240
	ds_read2_b32 v[34:35], v16 offset0:32 offset1:208
	;; [unrolled: 1-line block ×3, first 2 shown]
	s_waitcnt lgkmcnt(0)
	s_barrier
	buffer_gl0_inv
	v_pk_add_f16 v20, v9, v18 neg_lo:[0,1] neg_hi:[0,1]
	v_pk_add_f16 v77, v10, v19 neg_lo:[0,1] neg_hi:[0,1]
	;; [unrolled: 1-line block ×4, first 2 shown]
	v_pk_fma_f16 v19, v9, 2.0, v20 op_sel_hi:[1,0,1] neg_lo:[0,0,1] neg_hi:[0,0,1]
	v_pk_fma_f16 v76, v10, 2.0, v77 op_sel_hi:[1,0,1] neg_lo:[0,0,1] neg_hi:[0,0,1]
	;; [unrolled: 1-line block ×4, first 2 shown]
	ds_write_b64 v42, v[19:20]
	ds_write_b64 v74, v[76:77]
	;; [unrolled: 1-line block ×4, first 2 shown]
	s_waitcnt lgkmcnt(0)
	s_barrier
	buffer_gl0_inv
	ds_read2_b32 v[9:10], v32 offset1:176
	ds_read2_b32 v[18:19], v17 offset0:64 offset1:240
	ds_read2_b32 v[34:35], v16 offset0:32 offset1:208
	ds_read2_b32 v[72:73], v15 offset0:32 offset1:208
	s_waitcnt lgkmcnt(0)
	s_barrier
	buffer_gl0_inv
	v_lshrrev_b32_e32 v20, 16, v9
	v_lshrrev_b32_e32 v42, 16, v18
	v_lshrrev_b32_e32 v75, 16, v19
	v_mul_f16_sdwa v80, v36, v18 dst_sel:DWORD dst_unused:UNUSED_PAD src0_sel:WORD_1 src1_sel:DWORD
	v_lshrrev_b32_e32 v77, 16, v72
	v_mul_f16_sdwa v81, v36, v19 dst_sel:DWORD dst_unused:UNUSED_PAD src0_sel:WORD_1 src1_sel:DWORD
	v_lshrrev_b32_e32 v79, 16, v73
	v_mul_f16_sdwa v82, v36, v72 dst_sel:DWORD dst_unused:UNUSED_PAD src0_sel:WORD_1 src1_sel:DWORD
	v_mul_f16_sdwa v84, v36, v42 dst_sel:DWORD dst_unused:UNUSED_PAD src0_sel:WORD_1 src1_sel:DWORD
	v_fma_f16 v42, v36, v42, -v80
	v_mul_f16_sdwa v80, v36, v75 dst_sel:DWORD dst_unused:UNUSED_PAD src0_sel:WORD_1 src1_sel:DWORD
	v_fma_f16 v75, v36, v75, -v81
	v_mul_f16_sdwa v81, v36, v77 dst_sel:DWORD dst_unused:UNUSED_PAD src0_sel:WORD_1 src1_sel:DWORD
	v_mul_f16_sdwa v83, v36, v73 dst_sel:DWORD dst_unused:UNUSED_PAD src0_sel:WORD_1 src1_sel:DWORD
	v_fma_f16 v77, v36, v77, -v82
	v_mul_f16_sdwa v82, v36, v79 dst_sel:DWORD dst_unused:UNUSED_PAD src0_sel:WORD_1 src1_sel:DWORD
	v_fmac_f16_e32 v84, v36, v18
	v_lshrrev_b32_e32 v74, 16, v10
	v_fmac_f16_e32 v80, v36, v19
	v_lshrrev_b32_e32 v76, 16, v34
	v_fmac_f16_e32 v81, v36, v72
	v_lshrrev_b32_e32 v78, 16, v35
	v_fma_f16 v79, v36, v79, -v83
	v_fmac_f16_e32 v82, v36, v73
	v_sub_f16_e32 v18, v20, v42
	v_sub_f16_e32 v72, v9, v84
	v_sub_f16_e32 v19, v74, v75
	v_sub_f16_e32 v73, v10, v80
	v_sub_f16_e32 v36, v76, v77
	v_sub_f16_e32 v75, v34, v81
	v_sub_f16_e32 v42, v78, v79
	v_sub_f16_e32 v77, v35, v82
	v_fma_f16 v20, v20, 2.0, -v18
	v_fma_f16 v9, v9, 2.0, -v72
	v_fma_f16 v74, v74, 2.0, -v19
	v_fma_f16 v10, v10, 2.0, -v73
	v_fma_f16 v76, v76, 2.0, -v36
	v_fma_f16 v34, v34, 2.0, -v75
	v_fma_f16 v78, v78, 2.0, -v42
	v_fma_f16 v35, v35, 2.0, -v77
	v_pack_b32_f16 v18, v72, v18
	v_pack_b32_f16 v9, v9, v20
	v_pack_b32_f16 v19, v73, v19
	v_pack_b32_f16 v10, v10, v74
	v_pack_b32_f16 v36, v75, v36
	v_pack_b32_f16 v20, v34, v76
	v_pack_b32_f16 v42, v77, v42
	v_pack_b32_f16 v34, v35, v78
	ds_write2_b32 v38, v9, v18 offset1:2
	ds_write2_b32 v39, v10, v19 offset1:2
	ds_write2_b32 v40, v20, v36 offset1:2
	ds_write2_b32 v41, v34, v42 offset1:2
	s_waitcnt lgkmcnt(0)
	s_barrier
	buffer_gl0_inv
	ds_read2_b32 v[9:10], v32 offset1:176
	ds_read2_b32 v[18:19], v17 offset0:64 offset1:240
	ds_read2_b32 v[34:35], v16 offset0:32 offset1:208
	ds_read2_b32 v[38:39], v15 offset0:32 offset1:208
	s_waitcnt lgkmcnt(0)
	s_barrier
	buffer_gl0_inv
	v_lshrrev_b32_e32 v20, 16, v9
	v_lshrrev_b32_e32 v36, 16, v18
	v_lshrrev_b32_e32 v41, 16, v19
	v_mul_f16_sdwa v75, v37, v18 dst_sel:DWORD dst_unused:UNUSED_PAD src0_sel:WORD_1 src1_sel:DWORD
	v_lshrrev_b32_e32 v72, 16, v38
	v_mul_f16_sdwa v76, v37, v19 dst_sel:DWORD dst_unused:UNUSED_PAD src0_sel:WORD_1 src1_sel:DWORD
	v_lshrrev_b32_e32 v74, 16, v39
	v_mul_f16_sdwa v77, v37, v38 dst_sel:DWORD dst_unused:UNUSED_PAD src0_sel:WORD_1 src1_sel:DWORD
	v_mul_f16_sdwa v79, v37, v36 dst_sel:DWORD dst_unused:UNUSED_PAD src0_sel:WORD_1 src1_sel:DWORD
	v_fma_f16 v36, v37, v36, -v75
	v_mul_f16_sdwa v75, v37, v41 dst_sel:DWORD dst_unused:UNUSED_PAD src0_sel:WORD_1 src1_sel:DWORD
	v_fma_f16 v41, v37, v41, -v76
	v_mul_f16_sdwa v76, v37, v72 dst_sel:DWORD dst_unused:UNUSED_PAD src0_sel:WORD_1 src1_sel:DWORD
	v_mul_f16_sdwa v78, v37, v39 dst_sel:DWORD dst_unused:UNUSED_PAD src0_sel:WORD_1 src1_sel:DWORD
	v_fma_f16 v72, v37, v72, -v77
	v_mul_f16_sdwa v77, v37, v74 dst_sel:DWORD dst_unused:UNUSED_PAD src0_sel:WORD_1 src1_sel:DWORD
	v_fmac_f16_e32 v79, v37, v18
	v_lshrrev_b32_e32 v40, 16, v10
	v_fmac_f16_e32 v75, v37, v19
	v_lshrrev_b32_e32 v42, 16, v34
	v_fmac_f16_e32 v76, v37, v38
	v_lshrrev_b32_e32 v73, 16, v35
	v_fma_f16 v74, v37, v74, -v78
	v_fmac_f16_e32 v77, v37, v39
	v_sub_f16_e32 v18, v20, v36
	v_sub_f16_e32 v38, v9, v79
	v_sub_f16_e32 v19, v40, v41
	v_sub_f16_e32 v39, v10, v75
	v_sub_f16_e32 v36, v42, v72
	v_sub_f16_e32 v41, v34, v76
	v_sub_f16_e32 v37, v73, v74
	v_sub_f16_e32 v72, v35, v77
	v_fma_f16 v20, v20, 2.0, -v18
	v_fma_f16 v9, v9, 2.0, -v38
	v_fma_f16 v40, v40, 2.0, -v19
	v_fma_f16 v10, v10, 2.0, -v39
	v_fma_f16 v42, v42, 2.0, -v36
	v_fma_f16 v34, v34, 2.0, -v41
	v_fma_f16 v73, v73, 2.0, -v37
	v_fma_f16 v35, v35, 2.0, -v72
	v_pack_b32_f16 v18, v38, v18
	v_pack_b32_f16 v9, v9, v20
	v_pack_b32_f16 v19, v39, v19
	v_pack_b32_f16 v10, v10, v40
	v_pack_b32_f16 v36, v41, v36
	v_pack_b32_f16 v20, v34, v42
	v_pack_b32_f16 v37, v72, v37
	v_pack_b32_f16 v34, v35, v73
	ds_write2_b32 v44, v9, v18 offset1:4
	ds_write2_b32 v45, v10, v19 offset1:4
	ds_write2_b32 v46, v20, v36 offset1:4
	ds_write2_b32 v47, v34, v37 offset1:4
	s_waitcnt lgkmcnt(0)
	s_barrier
	buffer_gl0_inv
	ds_read2_b32 v[9:10], v32 offset1:176
	ds_read2_b32 v[18:19], v17 offset0:64 offset1:240
	ds_read2_b32 v[34:35], v16 offset0:32 offset1:208
	ds_read2_b32 v[36:37], v15 offset0:32 offset1:208
	s_waitcnt lgkmcnt(0)
	s_barrier
	buffer_gl0_inv
	v_lshrrev_b32_e32 v20, 16, v9
	v_lshrrev_b32_e32 v38, 16, v18
	v_lshrrev_b32_e32 v40, 16, v19
	v_mul_f16_sdwa v46, v43, v18 dst_sel:DWORD dst_unused:UNUSED_PAD src0_sel:WORD_1 src1_sel:DWORD
	v_lshrrev_b32_e32 v42, 16, v36
	v_mul_f16_sdwa v47, v43, v19 dst_sel:DWORD dst_unused:UNUSED_PAD src0_sel:WORD_1 src1_sel:DWORD
	v_lshrrev_b32_e32 v45, 16, v37
	v_mul_f16_sdwa v72, v43, v36 dst_sel:DWORD dst_unused:UNUSED_PAD src0_sel:WORD_1 src1_sel:DWORD
	v_mul_f16_sdwa v74, v43, v38 dst_sel:DWORD dst_unused:UNUSED_PAD src0_sel:WORD_1 src1_sel:DWORD
	v_fma_f16 v38, v43, v38, -v46
	v_mul_f16_sdwa v46, v43, v40 dst_sel:DWORD dst_unused:UNUSED_PAD src0_sel:WORD_1 src1_sel:DWORD
	v_fma_f16 v40, v43, v40, -v47
	v_mul_f16_sdwa v47, v43, v42 dst_sel:DWORD dst_unused:UNUSED_PAD src0_sel:WORD_1 src1_sel:DWORD
	v_mul_f16_sdwa v73, v43, v37 dst_sel:DWORD dst_unused:UNUSED_PAD src0_sel:WORD_1 src1_sel:DWORD
	v_fma_f16 v42, v43, v42, -v72
	v_mul_f16_sdwa v72, v43, v45 dst_sel:DWORD dst_unused:UNUSED_PAD src0_sel:WORD_1 src1_sel:DWORD
	v_fmac_f16_e32 v74, v43, v18
	v_lshrrev_b32_e32 v39, 16, v10
	v_fmac_f16_e32 v46, v43, v19
	v_lshrrev_b32_e32 v41, 16, v34
	v_fmac_f16_e32 v47, v43, v36
	v_lshrrev_b32_e32 v44, 16, v35
	v_fma_f16 v45, v43, v45, -v73
	v_fmac_f16_e32 v72, v43, v37
	v_sub_f16_e32 v18, v20, v38
	v_sub_f16_e32 v38, v9, v74
	v_sub_f16_e32 v19, v39, v40
	v_sub_f16_e32 v40, v10, v46
	v_sub_f16_e32 v36, v41, v42
	v_sub_f16_e32 v42, v34, v47
	v_sub_f16_e32 v37, v44, v45
	v_sub_f16_e32 v43, v35, v72
	v_fma_f16 v20, v20, 2.0, -v18
	v_fma_f16 v9, v9, 2.0, -v38
	v_fma_f16 v39, v39, 2.0, -v19
	v_fma_f16 v10, v10, 2.0, -v40
	v_fma_f16 v41, v41, 2.0, -v36
	v_fma_f16 v34, v34, 2.0, -v42
	v_fma_f16 v44, v44, 2.0, -v37
	v_fma_f16 v35, v35, 2.0, -v43
	v_pack_b32_f16 v18, v38, v18
	v_pack_b32_f16 v9, v9, v20
	v_pack_b32_f16 v19, v40, v19
	v_pack_b32_f16 v10, v10, v39
	v_pack_b32_f16 v36, v42, v36
	v_pack_b32_f16 v20, v34, v41
	v_pack_b32_f16 v37, v43, v37
	v_pack_b32_f16 v34, v35, v44
	ds_write2_b32 v49, v9, v18 offset1:8
	ds_write2_b32 v50, v10, v19 offset1:8
	ds_write2_b32 v51, v20, v36 offset1:8
	ds_write2_b32 v52, v34, v37 offset1:8
	s_waitcnt lgkmcnt(0)
	s_barrier
	buffer_gl0_inv
	ds_read2_b32 v[9:10], v32 offset1:176
	ds_read2_b32 v[18:19], v17 offset0:64 offset1:240
	ds_read2_b32 v[34:35], v16 offset0:32 offset1:208
	ds_read2_b32 v[36:37], v15 offset0:32 offset1:208
	s_waitcnt lgkmcnt(0)
	s_barrier
	buffer_gl0_inv
	v_lshrrev_b32_e32 v20, 16, v9
	v_lshrrev_b32_e32 v38, 16, v18
	v_lshrrev_b32_e32 v40, 16, v19
	v_mul_f16_sdwa v45, v48, v18 dst_sel:DWORD dst_unused:UNUSED_PAD src0_sel:WORD_1 src1_sel:DWORD
	v_lshrrev_b32_e32 v42, 16, v36
	v_mul_f16_sdwa v46, v48, v19 dst_sel:DWORD dst_unused:UNUSED_PAD src0_sel:WORD_1 src1_sel:DWORD
	v_lshrrev_b32_e32 v44, 16, v37
	v_mul_f16_sdwa v47, v48, v36 dst_sel:DWORD dst_unused:UNUSED_PAD src0_sel:WORD_1 src1_sel:DWORD
	v_mul_f16_sdwa v50, v48, v38 dst_sel:DWORD dst_unused:UNUSED_PAD src0_sel:WORD_1 src1_sel:DWORD
	v_fma_f16 v38, v48, v38, -v45
	v_mul_f16_sdwa v45, v48, v40 dst_sel:DWORD dst_unused:UNUSED_PAD src0_sel:WORD_1 src1_sel:DWORD
	v_fma_f16 v40, v48, v40, -v46
	v_mul_f16_sdwa v46, v48, v42 dst_sel:DWORD dst_unused:UNUSED_PAD src0_sel:WORD_1 src1_sel:DWORD
	v_mul_f16_sdwa v49, v48, v37 dst_sel:DWORD dst_unused:UNUSED_PAD src0_sel:WORD_1 src1_sel:DWORD
	v_fma_f16 v42, v48, v42, -v47
	v_mul_f16_sdwa v47, v48, v44 dst_sel:DWORD dst_unused:UNUSED_PAD src0_sel:WORD_1 src1_sel:DWORD
	v_fmac_f16_e32 v50, v48, v18
	v_lshrrev_b32_e32 v39, 16, v10
	v_fmac_f16_e32 v45, v48, v19
	v_lshrrev_b32_e32 v41, 16, v34
	v_fmac_f16_e32 v46, v48, v36
	v_lshrrev_b32_e32 v43, 16, v35
	v_fma_f16 v44, v48, v44, -v49
	v_fmac_f16_e32 v47, v48, v37
	v_sub_f16_e32 v18, v20, v38
	v_sub_f16_e32 v38, v9, v50
	v_sub_f16_e32 v19, v39, v40
	v_sub_f16_e32 v40, v10, v45
	v_sub_f16_e32 v36, v41, v42
	v_sub_f16_e32 v42, v34, v46
	v_sub_f16_e32 v37, v43, v44
	v_sub_f16_e32 v44, v35, v47
	v_fma_f16 v20, v20, 2.0, -v18
	v_fma_f16 v9, v9, 2.0, -v38
	v_fma_f16 v39, v39, 2.0, -v19
	v_fma_f16 v10, v10, 2.0, -v40
	v_fma_f16 v41, v41, 2.0, -v36
	v_fma_f16 v34, v34, 2.0, -v42
	v_fma_f16 v43, v43, 2.0, -v37
	v_fma_f16 v35, v35, 2.0, -v44
	v_pack_b32_f16 v18, v38, v18
	v_pack_b32_f16 v9, v9, v20
	v_pack_b32_f16 v19, v40, v19
	v_pack_b32_f16 v10, v10, v39
	v_pack_b32_f16 v36, v42, v36
	v_pack_b32_f16 v20, v34, v41
	v_pack_b32_f16 v37, v44, v37
	v_pack_b32_f16 v34, v35, v43
	ds_write2_b32 v56, v9, v18 offset1:16
	ds_write2_b32 v58, v10, v19 offset1:16
	ds_write2_b32 v59, v20, v36 offset1:16
	ds_write2_b32 v60, v34, v37 offset1:16
	s_waitcnt lgkmcnt(0)
	s_barrier
	buffer_gl0_inv
	ds_read2_b32 v[42:43], v32 offset1:176
	ds_read2_b32 v[9:10], v17 offset0:64 offset1:240
	ds_read2_b32 v[44:45], v16 offset0:32 offset1:208
	;; [unrolled: 1-line block ×3, first 2 shown]
	s_waitcnt lgkmcnt(0)
	s_barrier
	buffer_gl0_inv
	v_lshrrev_b32_e32 v17, 16, v42
	v_lshrrev_b32_e32 v18, 16, v9
	;; [unrolled: 1-line block ×4, first 2 shown]
	v_mul_f16_sdwa v38, v54, v10 dst_sel:DWORD dst_unused:UNUSED_PAD src0_sel:WORD_1 src1_sel:DWORD
	v_lshrrev_b32_e32 v35, 16, v16
	v_mul_f16_sdwa v37, v53, v9 dst_sel:DWORD dst_unused:UNUSED_PAD src0_sel:WORD_1 src1_sel:DWORD
	v_mul_f16_sdwa v47, v53, v18 dst_sel:DWORD dst_unused:UNUSED_PAD src0_sel:WORD_1 src1_sel:DWORD
	v_mul_f16_sdwa v48, v54, v20 dst_sel:DWORD dst_unused:UNUSED_PAD src0_sel:WORD_1 src1_sel:DWORD
	v_mul_f16_sdwa v39, v53, v15 dst_sel:DWORD dst_unused:UNUSED_PAD src0_sel:WORD_1 src1_sel:DWORD
	v_fma_f16 v20, v55, v20, -v38
	v_mul_f16_sdwa v38, v53, v34 dst_sel:DWORD dst_unused:UNUSED_PAD src0_sel:WORD_1 src1_sel:DWORD
	v_mul_f16_e32 v40, v57, v16
	v_mul_f16_e32 v49, v57, v35
	v_fma_f16 v18, v53, v18, -v37
	v_fmac_f16_e32 v47, v53, v9
	v_lshrrev_b32_e32 v19, 16, v43
	v_fmac_f16_e32 v48, v55, v10
	v_lshrrev_b32_e32 v36, 16, v44
	v_fma_f16 v34, v53, v34, -v39
	v_fmac_f16_e32 v38, v53, v15
	v_lshrrev_b32_e32 v46, 16, v45
	v_fma_f16 v37, v54, v35, -v40
	v_fmac_f16_e32 v49, v54, v16
	v_sub_f16_e32 v41, v17, v18
	v_sub_f16_e32 v10, v42, v47
	;; [unrolled: 1-line block ×8, first 2 shown]
	v_fma_f16 v34, v17, 2.0, -v41
	v_fma_f16 v9, v42, 2.0, -v10
	;; [unrolled: 1-line block ×8, first 2 shown]
	v_pack_b32_f16 v42, v10, v41
	v_pack_b32_f16 v46, v9, v34
	;; [unrolled: 1-line block ×8, first 2 shown]
	ds_write2_b32 v61, v46, v42 offset1:32
	ds_write2_b32 v62, v47, v43 offset1:32
	;; [unrolled: 1-line block ×4, first 2 shown]
	s_waitcnt lgkmcnt(0)
	s_barrier
	buffer_gl0_inv
	s_and_saveexec_b32 s0, vcc_lo
	s_cbranch_execz .LBB0_7
; %bb.6:
	ds_read2st64_b32 v[9:10], v32 offset1:2
	ds_read2st64_b32 v[19:20], v32 offset0:4 offset1:6
	ds_read2st64_b32 v[15:16], v32 offset0:8 offset1:10
	;; [unrolled: 1-line block ×4, first 2 shown]
	ds_read_b32 v70, v32 offset:5120
	s_waitcnt lgkmcnt(5)
	v_lshrrev_b32_e32 v34, 16, v9
	v_lshrrev_b32_e32 v41, 16, v10
	s_waitcnt lgkmcnt(4)
	v_lshrrev_b32_e32 v40, 16, v19
	v_lshrrev_b32_e32 v39, 16, v20
	;; [unrolled: 3-line block ×5, first 2 shown]
	s_waitcnt lgkmcnt(0)
	v_lshrrev_b32_e32 v71, 16, v70
.LBB0_7:
	s_or_b32 exec_lo, exec_lo, s0
	s_barrier
	buffer_gl0_inv
	s_and_saveexec_b32 s0, vcc_lo
	s_cbranch_execz .LBB0_9
; %bb.8:
	v_mul_f16_sdwa v42, v4, v41 dst_sel:DWORD dst_unused:UNUSED_PAD src0_sel:WORD_1 src1_sel:DWORD
	v_mul_f16_sdwa v43, v12, v71 dst_sel:DWORD dst_unused:UNUSED_PAD src0_sel:WORD_1 src1_sel:DWORD
	;; [unrolled: 1-line block ×5, first 2 shown]
	v_fmac_f16_e32 v42, v4, v10
	v_fmac_f16_e32 v43, v12, v70
	v_mul_f16_sdwa v47, v11, v69 dst_sel:DWORD dst_unused:UNUSED_PAD src0_sel:WORD_1 src1_sel:DWORD
	v_fma_f16 v12, v12, v71, -v44
	v_fma_f16 v41, v4, v41, -v45
	v_fmac_f16_e32 v46, v5, v19
	v_sub_f16_e32 v10, v42, v43
	v_fmac_f16_e32 v47, v11, v14
	v_mul_f16_sdwa v14, v11, v14 dst_sel:DWORD dst_unused:UNUSED_PAD src0_sel:WORD_1 src1_sel:DWORD
	v_mul_f16_sdwa v19, v5, v19 dst_sel:DWORD dst_unused:UNUSED_PAD src0_sel:WORD_1 src1_sel:DWORD
	;; [unrolled: 1-line block ×4, first 2 shown]
	v_mul_f16_e32 v44, 0xba0c, v10
	v_add_f16_e32 v45, v12, v41
	v_sub_f16_e32 v4, v46, v47
	v_fma_f16 v11, v11, v69, -v14
	v_fma_f16 v5, v5, v40, -v19
	v_fmac_f16_e32 v48, v6, v20
	v_fmac_f16_e32 v49, v3, v13
	v_mul_f16_sdwa v13, v3, v13 dst_sel:DWORD dst_unused:UNUSED_PAD src0_sel:WORD_1 src1_sel:DWORD
	v_mul_f16_sdwa v20, v6, v20 dst_sel:DWORD dst_unused:UNUSED_PAD src0_sel:WORD_1 src1_sel:DWORD
	;; [unrolled: 1-line block ×4, first 2 shown]
	v_fmamk_f16 v14, v45, 0xb93d, v44
	v_mul_f16_e32 v19, 0x3beb, v4
	v_add_f16_e32 v40, v11, v5
	v_sub_f16_e32 v53, v48, v49
	v_fma_f16 v3, v3, v68, -v13
	v_fma_f16 v6, v6, v39, -v20
	v_fmac_f16_e32 v51, v7, v15
	v_fmac_f16_e32 v52, v2, v18
	v_mul_f16_sdwa v13, v2, v18 dst_sel:DWORD dst_unused:UNUSED_PAD src0_sel:WORD_1 src1_sel:DWORD
	v_mul_f16_sdwa v15, v7, v15 dst_sel:DWORD dst_unused:UNUSED_PAD src0_sel:WORD_1 src1_sel:DWORD
	v_add_f16_e32 v14, v34, v14
	v_fmamk_f16 v50, v40, 0xb08e, v19
	v_mul_f16_e32 v18, 0xb853, v53
	v_add_f16_e32 v20, v3, v6
	v_sub_f16_e32 v39, v51, v52
	v_fma_f16 v2, v2, v37, -v13
	v_fma_f16 v7, v7, v38, -v15
	v_add_f16_e32 v13, v50, v14
	v_fmamk_f16 v14, v20, 0x3abb, v18
	v_mul_f16_e32 v15, 0xb482, v39
	v_mul_f16_sdwa v38, v0, v35 dst_sel:DWORD dst_unused:UNUSED_PAD src0_sel:WORD_1 src1_sel:DWORD
	v_add_f16_e32 v37, v2, v7
	v_mul_f16_sdwa v50, v1, v36 dst_sel:DWORD dst_unused:UNUSED_PAD src0_sel:WORD_1 src1_sel:DWORD
	v_add_f16_e32 v13, v14, v13
	v_add_f16_e32 v54, v43, v42
	v_fmac_f16_e32 v38, v0, v16
	v_fmamk_f16 v14, v37, 0xbbad, v15
	v_fmac_f16_e32 v50, v1, v17
	v_mul_f16_sdwa v17, v1, v17 dst_sel:DWORD dst_unused:UNUSED_PAD src0_sel:WORD_1 src1_sel:DWORD
	v_mul_f16_sdwa v16, v0, v16 dst_sel:DWORD dst_unused:UNUSED_PAD src0_sel:WORD_1 src1_sel:DWORD
	v_sub_f16_e32 v57, v5, v11
	v_add_f16_e32 v13, v14, v13
	v_sub_f16_e32 v14, v41, v12
	v_sub_f16_e32 v56, v38, v50
	v_fma_f16 v1, v1, v36, -v17
	v_fma_f16 v0, v0, v35, -v16
	v_add_f16_e32 v17, v47, v46
	v_mul_f16_e32 v55, 0xba0c, v14
	v_mul_f16_e32 v35, 0x3beb, v57
	v_sub_f16_e32 v58, v6, v3
	v_mul_f16_e32 v36, 0x3b47, v56
	v_add_f16_e32 v59, v1, v0
	v_fma_f16 v16, v54, 0xb93d, -v55
	v_fma_f16 v60, v17, 0xb08e, -v35
	v_add_f16_e32 v61, v49, v48
	v_mul_f16_e32 v62, 0xb853, v58
	v_fmamk_f16 v63, v59, 0x36a6, v36
	v_add_f16_e32 v16, v9, v16
	v_add_f16_e32 v68, v52, v51
	v_mul_f16_e32 v71, 0x3853, v4
	v_fma_f16 v64, v61, 0x3abb, -v62
	v_add_f16_e32 v13, v63, v13
	v_add_f16_e32 v16, v60, v16
	v_sub_f16_e32 v60, v7, v2
	v_mul_f16_e32 v63, 0xb482, v10
	v_add_f16_e32 v73, v50, v38
	v_fmamk_f16 v75, v40, 0x3abb, v71
	v_add_f16_e32 v16, v64, v16
	v_mul_f16_e32 v69, 0xb482, v60
	v_sub_f16_e32 v64, v0, v1
	v_fmamk_f16 v70, v45, 0xbbad, v63
	v_mul_f16_e32 v76, 0xba0c, v53
	v_mul_f16_e32 v77, 0xb482, v14
	v_fma_f16 v72, v68, 0xbbad, -v69
	v_mul_f16_e32 v74, 0x3b47, v64
	v_add_f16_e32 v70, v34, v70
	v_mul_f16_e32 v78, 0x3b47, v39
	v_mul_f16_e32 v79, 0x3853, v57
	v_add_f16_e32 v16, v72, v16
	v_fma_f16 v72, v73, 0x36a6, -v74
	v_add_f16_e32 v70, v75, v70
	v_fmamk_f16 v75, v20, 0xb93d, v76
	v_mul_f16_e32 v80, 0xbbeb, v56
	v_fma_f16 v81, v17, 0x3abb, -v79
	v_add_f16_e32 v16, v72, v16
	v_fma_f16 v72, v54, 0xbbad, -v77
	v_add_f16_e32 v70, v75, v70
	v_fmamk_f16 v75, v37, 0x36a6, v78
	v_mul_f16_e32 v82, 0xba0c, v58
	v_fma_f16 v63, v45, 0xbbad, -v63
	v_add_f16_e32 v72, v9, v72
	v_fma_f16 v44, v45, 0xb93d, -v44
	v_add_f16_e32 v70, v75, v70
	v_fmamk_f16 v75, v59, 0xb08e, v80
	v_mul_f16_e32 v83, 0x3b47, v60
	v_add_f16_e32 v72, v81, v72
	v_fma_f16 v81, v61, 0xb93d, -v82
	v_add_f16_e32 v63, v34, v63
	v_fma_f16 v71, v40, 0x3abb, -v71
	;; [unrolled: 2-line block ×3, first 2 shown]
	v_add_f16_e32 v70, v75, v70
	v_add_f16_e32 v72, v81, v72
	v_fma_f16 v75, v68, 0x36a6, -v83
	v_mul_f16_e32 v81, 0xbbeb, v64
	v_fmac_f16_e32 v77, 0xbbad, v54
	v_add_f16_e32 v63, v71, v63
	v_fma_f16 v71, v20, 0xb93d, -v76
	v_fmac_f16_e32 v55, 0xb93d, v54
	v_add_f16_e32 v19, v19, v44
	v_fma_f16 v18, v20, 0x3abb, -v18
	v_add_f16_e32 v72, v75, v72
	v_fma_f16 v75, v73, 0xb08e, -v81
	v_add_f16_e32 v76, v9, v77
	v_fmac_f16_e32 v79, 0x3abb, v17
	v_add_f16_e32 v63, v71, v63
	v_fma_f16 v71, v37, 0x36a6, -v78
	v_add_f16_e32 v55, v9, v55
	v_fmac_f16_e32 v35, 0xb08e, v17
	v_add_f16_e32 v18, v18, v19
	v_fma_f16 v15, v37, 0xbbad, -v15
	v_mul_f16_e32 v19, 0xb08e, v45
	v_add_f16_e32 v72, v75, v72
	v_add_f16_e32 v75, v79, v76
	v_fmac_f16_e32 v82, 0xb93d, v61
	v_add_f16_e32 v63, v71, v63
	v_fma_f16 v71, v59, 0xb08e, -v80
	v_add_f16_e32 v35, v35, v55
	v_fmac_f16_e32 v62, 0x3abb, v61
	v_add_f16_e32 v15, v15, v18
	v_fmamk_f16 v18, v10, 0x3beb, v19
	v_mul_f16_e32 v55, 0xbbad, v40
	v_fma_f16 v36, v59, 0x36a6, -v36
	v_add_f16_e32 v75, v82, v75
	v_fmac_f16_e32 v83, 0x36a6, v68
	v_add_f16_e32 v63, v71, v63
	v_add_f16_e32 v35, v62, v35
	v_fmac_f16_e32 v69, 0xbbad, v68
	v_add_f16_e32 v18, v34, v18
	v_fmamk_f16 v62, v4, 0xb482, v55
	v_mul_f16_e32 v71, 0x36a6, v20
	v_add_f16_e32 v15, v36, v15
	v_mul_f16_e32 v36, 0xbbeb, v14
	v_add_f16_e32 v44, v83, v75
	v_add_f16_e32 v35, v69, v35
	;; [unrolled: 1-line block ×3, first 2 shown]
	v_fmamk_f16 v62, v53, 0xbb47, v71
	v_mul_f16_e32 v69, 0x3abb, v37
	v_fmac_f16_e32 v74, 0x36a6, v73
	v_fmamk_f16 v75, v54, 0xb08e, v36
	v_mul_f16_e32 v76, 0x3482, v57
	v_add_f16_e32 v18, v62, v18
	v_fmamk_f16 v62, v39, 0x3853, v69
	v_add_f16_e32 v35, v74, v35
	v_add_f16_e32 v74, v9, v75
	v_fmamk_f16 v75, v17, 0xbbad, v76
	v_mul_f16_e32 v77, 0x3b47, v58
	v_fmac_f16_e32 v81, 0xb08e, v73
	v_add_f16_e32 v18, v62, v18
	v_mul_f16_e32 v62, 0xb93d, v59
	v_mul_f16_e32 v78, 0x36a6, v45
	v_add_f16_e32 v74, v75, v74
	v_fmamk_f16 v75, v61, 0x36a6, v77
	v_mul_f16_e32 v79, 0xb853, v60
	v_add_f16_e32 v44, v81, v44
	v_fmamk_f16 v80, v56, 0x3a0c, v62
	v_fmamk_f16 v81, v10, 0x3b47, v78
	v_mul_f16_e32 v82, 0xb93d, v40
	v_add_f16_e32 v74, v75, v74
	v_fmamk_f16 v75, v68, 0x3abb, v79
	v_add_f16_e32 v18, v80, v18
	v_add_f16_e32 v80, v34, v81
	v_fmamk_f16 v81, v4, 0x3a0c, v82
	v_mul_f16_e32 v83, 0xbbad, v20
	v_add_f16_e32 v74, v75, v74
	v_mul_f16_e32 v75, 0xbb47, v14
	v_add_f16_e32 v41, v41, v34
	;; [unrolled: 2-line block ×3, first 2 shown]
	v_fmamk_f16 v81, v53, 0xb482, v83
	v_mul_f16_e32 v85, 0xb08e, v37
	v_fmamk_f16 v86, v54, 0x36a6, v75
	v_mul_f16_e32 v87, 0xba0c, v57
	v_add_f16_e32 v5, v5, v41
	v_fmamk_f16 v88, v73, 0xb93d, v84
	v_add_f16_e32 v80, v81, v80
	v_fmamk_f16 v81, v39, 0xbbeb, v85
	;; [unrolled: 2-line block ×3, first 2 shown]
	v_mul_f16_e32 v90, 0x3482, v58
	v_mul_f16_e32 v45, 0x3abb, v45
	v_add_f16_e32 v5, v6, v5
	v_add_f16_e32 v74, v88, v74
	;; [unrolled: 1-line block ×4, first 2 shown]
	v_fmamk_f16 v86, v61, 0xbbad, v90
	v_mul_f16_e32 v88, 0x3beb, v60
	v_fmamk_f16 v91, v10, 0x3853, v45
	v_mul_f16_e32 v40, 0x36a6, v40
	v_add_f16_e32 v5, v7, v5
	v_add_f16_e32 v81, v86, v81
	v_fmamk_f16 v86, v68, 0xb08e, v88
	v_mul_f16_e32 v92, 0x3853, v64
	v_add_f16_e32 v91, v34, v91
	v_fmamk_f16 v93, v4, 0x3b47, v40
	v_mul_f16_e32 v20, 0xb08e, v20
	v_add_f16_e32 v0, v0, v5
	v_add_f16_e32 v81, v86, v81
	v_fmamk_f16 v86, v73, 0x3abb, v92
	v_add_f16_e32 v91, v93, v91
	v_fmamk_f16 v93, v53, 0x3beb, v20
	v_mul_f16_e32 v14, 0xb853, v14
	v_add_f16_e32 v42, v9, v42
	v_add_f16_e32 v0, v1, v0
	;; [unrolled: 1-line block ×4, first 2 shown]
	v_fmamk_f16 v91, v54, 0x3abb, v14
	v_mul_f16_e32 v57, 0xbb47, v57
	v_add_f16_e32 v42, v46, v42
	v_add_f16_e32 v0, v2, v0
	v_fma_f16 v2, v54, 0xb08e, -v36
	v_add_f16_e32 v91, v9, v91
	v_fmamk_f16 v93, v17, 0x36a6, v57
	v_add_f16_e32 v42, v48, v42
	v_mul_f16_e32 v41, 0xbbeb, v58
	v_add_f16_e32 v0, v3, v0
	v_add_f16_e32 v2, v9, v2
	v_fma_f16 v3, v17, 0xbbad, -v76
	v_mul_f16_e32 v37, 0xb93d, v37
	v_add_f16_e32 v48, v93, v91
	v_add_f16_e32 v42, v51, v42
	v_fmamk_f16 v6, v61, 0xb08e, v41
	v_mul_f16_e32 v51, 0xba0c, v60
	v_add_f16_e32 v2, v3, v2
	v_fma_f16 v3, v61, 0x36a6, -v77
	v_fmamk_f16 v46, v39, 0x3a0c, v37
	v_mul_f16_e32 v58, 0xbbad, v59
	v_add_f16_e32 v38, v38, v42
	v_add_f16_e32 v6, v6, v48
	v_fmamk_f16 v7, v68, 0xb93d, v51
	v_mul_f16_e32 v42, 0xb482, v64
	v_add_f16_e32 v2, v3, v2
	v_fma_f16 v3, v68, 0x3abb, -v79
	v_add_f16_e32 v0, v11, v0
	v_add_f16_e32 v46, v46, v86
	v_fmamk_f16 v5, v56, 0x3482, v58
	v_add_f16_e32 v6, v7, v6
	v_fmamk_f16 v7, v73, 0xbbad, v42
	v_fmac_f16_e32 v19, 0xbbeb, v10
	v_add_f16_e32 v2, v3, v2
	v_fma_f16 v3, v54, 0x36a6, -v75
	v_add_f16_e32 v0, v12, v0
	v_fma_f16 v12, v73, 0xb93d, -v84
	v_add_f16_e32 v38, v50, v38
	v_add_f16_e32 v1, v5, v46
	;; [unrolled: 1-line block ×5, first 2 shown]
	v_fma_f16 v19, v17, 0xb93d, -v87
	v_fmac_f16_e32 v45, 0xb853, v10
	v_fmac_f16_e32 v78, 0xbb47, v10
	v_add_f16_e32 v2, v12, v2
	v_fma_f16 v12, v54, 0x3abb, -v14
	v_add_f16_e32 v38, v52, v38
	v_add_f16_e32 v3, v19, v3
	v_fma_f16 v10, v61, 0xbbad, -v90
	v_add_f16_e32 v14, v34, v45
	v_fmac_f16_e32 v40, 0xbb47, v4
	v_fmac_f16_e32 v55, 0x3482, v4
	v_add_f16_e32 v11, v34, v78
	v_fmac_f16_e32 v82, 0xba0c, v4
	v_add_f16_e32 v4, v9, v12
	v_fma_f16 v9, v17, 0x36a6, -v57
	v_add_f16_e32 v6, v49, v38
	v_add_f16_e32 v3, v10, v3
	v_fma_f16 v10, v68, 0xb08e, -v88
	v_add_f16_e32 v12, v40, v14
	v_fmac_f16_e32 v20, 0xbbeb, v53
	v_add_f16_e32 v7, v55, v7
	v_fmac_f16_e32 v71, 0x3b47, v53
	;; [unrolled: 2-line block ×3, first 2 shown]
	v_add_f16_e32 v4, v9, v4
	v_fma_f16 v9, v61, 0xb08e, -v41
	v_mul_f16_e32 v89, 0x3abb, v59
	v_add_f16_e32 v6, v47, v6
	v_add_f16_e32 v3, v10, v3
	;; [unrolled: 1-line block ×3, first 2 shown]
	v_mul_u32_u24_e32 v12, 0x2c0, v21
	v_add_f16_e32 v7, v71, v7
	v_fmac_f16_e32 v69, 0xb853, v39
	v_add_f16_e32 v11, v83, v11
	v_fmac_f16_e32 v85, 0x3beb, v39
	v_fmac_f16_e32 v37, 0xba0c, v39
	v_add_f16_e32 v4, v9, v4
	v_fma_f16 v9, v68, 0xb93d, -v51
	v_fmamk_f16 v94, v56, 0xb853, v89
	v_add_f16_e32 v6, v43, v6
	v_or_b32_e32 v12, v12, v33
	v_add_f16_e32 v7, v69, v7
	v_fmac_f16_e32 v62, 0xba0c, v56
	v_add_f16_e32 v11, v85, v11
	v_fmac_f16_e32 v89, 0x3853, v56
	v_fma_f16 v14, v73, 0x3abb, -v92
	v_add_f16_e32 v10, v37, v10
	v_fmac_f16_e32 v58, 0xb482, v56
	v_add_f16_e32 v4, v9, v4
	v_fma_f16 v9, v73, 0xbbad, -v42
	v_add_f16_e32 v80, v94, v80
	v_lshlrev_b32_e32 v12, 2, v12
	v_pack_b32_f16 v0, v6, v0
	v_pack_b32_f16 v1, v5, v1
	v_add_f16_e32 v7, v62, v7
	v_add_f16_e32 v5, v89, v11
	;; [unrolled: 1-line block ×5, first 2 shown]
	ds_write2st64_b32 v12, v0, v1 offset1:1
	v_pack_b32_f16 v0, v81, v80
	v_pack_b32_f16 v1, v74, v18
	;; [unrolled: 1-line block ×9, first 2 shown]
	ds_write2st64_b32 v12, v0, v1 offset0:2 offset1:3
	ds_write2st64_b32 v12, v9, v10 offset0:4 offset1:5
	;; [unrolled: 1-line block ×4, first 2 shown]
	ds_write_b32 v12, v4 offset:2560
.LBB0_9:
	s_or_b32 exec_lo, exec_lo, s0
	v_add_nc_u32_e32 v11, 0xa00, v32
	v_add_nc_u32_e32 v1, 0x500, v32
	;; [unrolled: 1-line block ×3, first 2 shown]
	s_waitcnt lgkmcnt(0)
	s_barrier
	buffer_gl0_inv
	ds_read2_b32 v[2:3], v32 offset1:176
	ds_read2_b32 v[4:5], v11 offset0:64 offset1:240
	ds_read2_b32 v[6:7], v1 offset0:32 offset1:208
	;; [unrolled: 1-line block ×3, first 2 shown]
	s_mov_b32 s6, 0x745d1746
	s_mov_b32 s7, 0x3f4745d1
	s_mul_i32 s3, s8, 0xb00
	s_waitcnt lgkmcnt(2)
	v_lshrrev_b32_e32 v14, 16, v4
	v_lshrrev_b32_e32 v15, 16, v5
	v_mul_f16_sdwa v20, v22, v4 dst_sel:DWORD dst_unused:UNUSED_PAD src0_sel:WORD_1 src1_sel:DWORD
	s_waitcnt lgkmcnt(0)
	v_lshrrev_b32_e32 v17, 16, v9
	v_lshrrev_b32_e32 v19, 16, v10
	v_mul_f16_sdwa v21, v65, v5 dst_sel:DWORD dst_unused:UNUSED_PAD src0_sel:WORD_1 src1_sel:DWORD
	v_mul_f16_sdwa v33, v66, v9 dst_sel:DWORD dst_unused:UNUSED_PAD src0_sel:WORD_1 src1_sel:DWORD
	;; [unrolled: 1-line block ×3, first 2 shown]
	v_fma_f16 v14, v22, v14, -v20
	v_mul_f16_sdwa v20, v65, v15 dst_sel:DWORD dst_unused:UNUSED_PAD src0_sel:WORD_1 src1_sel:DWORD
	v_mul_f16_sdwa v34, v67, v10 dst_sel:DWORD dst_unused:UNUSED_PAD src0_sel:WORD_1 src1_sel:DWORD
	v_fma_f16 v15, v65, v15, -v21
	v_mul_f16_sdwa v21, v66, v17 dst_sel:DWORD dst_unused:UNUSED_PAD src0_sel:WORD_1 src1_sel:DWORD
	v_fma_f16 v17, v66, v17, -v33
	v_mul_f16_sdwa v33, v67, v19 dst_sel:DWORD dst_unused:UNUSED_PAD src0_sel:WORD_1 src1_sel:DWORD
	v_lshrrev_b32_e32 v12, 16, v2
	v_lshrrev_b32_e32 v13, 16, v3
	v_fmac_f16_e32 v35, v22, v4
	v_fmac_f16_e32 v20, v65, v5
	v_lshrrev_b32_e32 v16, 16, v6
	v_lshrrev_b32_e32 v18, 16, v7
	v_fma_f16 v19, v67, v19, -v34
	v_fmac_f16_e32 v21, v66, v9
	v_fmac_f16_e32 v33, v67, v10
	v_sub_f16_e32 v4, v12, v14
	v_sub_f16_e32 v5, v13, v15
	;; [unrolled: 1-line block ×8, first 2 shown]
	v_fma_f16 v12, v12, 2.0, -v4
	v_fma_f16 v13, v13, 2.0, -v5
	;; [unrolled: 1-line block ×8, first 2 shown]
	v_pack_b32_f16 v4, v14, v4
	v_pack_b32_f16 v2, v2, v12
	;; [unrolled: 1-line block ×5, first 2 shown]
	v_add_nc_u32_e32 v12, 0xd00, v32
	v_pack_b32_f16 v6, v6, v16
	v_pack_b32_f16 v7, v7, v18
	;; [unrolled: 1-line block ×3, first 2 shown]
	ds_write_b32 v32, v4 offset:2816
	ds_write2_b32 v32, v2, v3 offset1:176
	ds_write2_b32 v12, v5, v9 offset0:48 offset1:224
	ds_write2_b32 v1, v6, v7 offset0:32 offset1:208
	ds_write_b32 v32, v10 offset:4928
	s_waitcnt lgkmcnt(0)
	s_barrier
	buffer_gl0_inv
	ds_read2_b32 v[2:3], v32 offset1:176
	ds_read2_b32 v[4:5], v11 offset0:64 offset1:240
	v_mad_u64_u32 v[13:14], null, s10, v8, 0
	v_mad_u64_u32 v[17:18], null, s8, v28, 0
	s_waitcnt lgkmcnt(1)
	v_lshrrev_b32_e32 v6, 16, v2
	v_mul_f16_sdwa v7, v30, v2 dst_sel:DWORD dst_unused:UNUSED_PAD src0_sel:WORD_1 src1_sel:DWORD
	s_waitcnt lgkmcnt(0)
	v_lshrrev_b32_e32 v9, 16, v4
	v_mul_f16_sdwa v10, v31, v4 dst_sel:DWORD dst_unused:UNUSED_PAD src0_sel:WORD_1 src1_sel:DWORD
	v_lshrrev_b32_e32 v32, 16, v3
	v_mul_f16_sdwa v11, v30, v6 dst_sel:DWORD dst_unused:UNUSED_PAD src0_sel:WORD_1 src1_sel:DWORD
	v_fma_f16 v7, v30, v6, -v7
	v_fma_f16 v6, v31, v9, -v10
	v_fmac_f16_e32 v11, v30, v2
	v_cvt_f32_f16_e32 v7, v7
	v_mul_f16_sdwa v2, v31, v9 dst_sel:DWORD dst_unused:UNUSED_PAD src0_sel:WORD_1 src1_sel:DWORD
	v_cvt_f32_f16_e32 v9, v6
	v_cvt_f32_f16_e32 v11, v11
	v_cvt_f64_f32_e32 v[6:7], v7
	v_fmac_f16_e32 v2, v31, v4
	v_cvt_f64_f32_e32 v[9:10], v9
	v_mul_f16_sdwa v4, v29, v32 dst_sel:DWORD dst_unused:UNUSED_PAD src0_sel:WORD_1 src1_sel:DWORD
	v_cvt_f64_f32_e32 v[11:12], v11
	v_cvt_f32_f16_e32 v2, v2
	v_fmac_f16_e32 v4, v29, v3
	v_cvt_f64_f32_e32 v[15:16], v2
	v_cvt_f32_f16_e32 v2, v4
	v_mov_b32_e32 v4, v18
	v_cvt_f64_f32_e32 v[19:20], v2
	v_mov_b32_e32 v2, v14
	v_mad_u64_u32 v[30:31], null, s9, v28, v[4:5]
	v_mul_f64 v[6:7], v[6:7], s[6:7]
	v_mul_f16_sdwa v4, v29, v3 dst_sel:DWORD dst_unused:UNUSED_PAD src0_sel:WORD_1 src1_sel:DWORD
	v_mul_f64 v[9:10], v[9:10], s[6:7]
	v_mad_u64_u32 v[21:22], null, s11, v8, v[2:3]
	v_mul_f64 v[11:12], v[11:12], s[6:7]
	v_fma_f16 v4, v29, v32, -v4
	v_mov_b32_e32 v18, v30
	v_mul_f64 v[2:3], v[15:16], s[6:7]
	v_mov_b32_e32 v14, v21
	v_cvt_f32_f16_e32 v4, v4
	v_mul_f64 v[15:16], v[19:20], s[6:7]
	v_and_or_b32 v6, 0x1ff, v7, v6
	v_bfe_u32 v19, v7, 20, 11
	v_and_or_b32 v9, 0x1ff, v10, v9
	v_lshrrev_b32_e32 v8, 8, v7
	v_lshrrev_b32_e32 v20, 8, v10
	v_cmp_ne_u32_e32 vcc_lo, 0, v6
	v_and_or_b32 v11, 0x1ff, v12, v11
	v_lshrrev_b32_e32 v22, 8, v12
	v_bfe_u32 v28, v12, 20, 11
	v_sub_nc_u32_e32 v29, 0x3f1, v19
	v_cndmask_b32_e64 v6, 0, 1, vcc_lo
	v_cmp_ne_u32_e32 vcc_lo, 0, v9
	v_and_or_b32 v2, 0x1ff, v3, v2
	v_bfe_u32 v31, v3, 20, 11
	v_sub_nc_u32_e32 v33, 0x3f1, v28
	v_lshrrev_b32_e32 v30, 8, v3
	v_cndmask_b32_e64 v9, 0, 1, vcc_lo
	v_cmp_ne_u32_e32 vcc_lo, 0, v11
	v_and_or_b32 v6, 0xffe, v8, v6
	v_med3_i32 v8, v29, 0, 13
	v_add_nc_u32_e32 v29, 0xfffffc10, v31
	v_and_or_b32 v20, 0xffe, v20, v9
	v_cndmask_b32_e64 v11, 0, 1, vcc_lo
	v_cmp_ne_u32_e32 vcc_lo, 0, v2
	v_med3_i32 v9, v33, 0, 13
	v_or_b32_e32 v33, 0x1000, v6
	v_add_nc_u32_e32 v19, 0xfffffc10, v19
	v_and_or_b32 v11, 0xffe, v22, v11
	v_cndmask_b32_e64 v2, 0, 1, vcc_lo
	v_sub_nc_u32_e32 v22, 0x3f1, v31
	v_cmp_ne_u32_e32 vcc_lo, 0, v6
	v_lshrrev_b32_e32 v35, v8, v33
	v_or_b32_e32 v31, 0x1000, v11
	v_and_or_b32 v2, 0xffe, v30, v2
	v_lshl_or_b32 v34, v19, 12, v6
	v_cndmask_b32_e64 v6, 0, 1, vcc_lo
	v_lshlrev_b32_e32 v8, v8, v35
	v_lshrrev_b32_e32 v30, v9, v31
	v_add_nc_u32_e32 v28, 0xfffffc10, v28
	v_med3_i32 v22, v22, 0, 13
	v_or_b32_e32 v36, 0x1000, v2
	v_bfe_u32 v21, v10, 20, 11
	v_lshlrev_b32_e32 v9, v9, v30
	v_lshl_or_b32 v38, v28, 12, v11
	v_or_b32_e32 v37, 0x1000, v20
	v_lshrrev_b32_e32 v39, v22, v36
	v_sub_nc_u32_e32 v32, 0x3f1, v21
	v_cmp_ne_u32_e32 vcc_lo, v9, v31
	v_lshl_or_b32 v31, v29, 12, v2
	v_lshrrev_b32_e32 v12, 16, v12
	v_lshlrev_b32_e32 v22, v22, v39
	v_med3_i32 v32, v32, 0, 13
	v_cndmask_b32_e64 v9, 0, 1, vcc_lo
	v_cmp_ne_u32_e32 vcc_lo, v8, v33
	v_lshl_or_b32 v6, v6, 9, 0x7c00
	v_lshrrev_b32_e32 v7, 16, v7
	v_lshrrev_b32_e32 v3, 16, v3
	v_or_b32_e32 v9, v30, v9
	v_cndmask_b32_e64 v8, 0, 1, vcc_lo
	v_cmp_ne_u32_e32 vcc_lo, 0, v11
	v_lshrrev_b32_e32 v10, 16, v10
	v_or_b32_e32 v8, v35, v8
	v_cndmask_b32_e64 v11, 0, 1, vcc_lo
	v_cmp_gt_i32_e32 vcc_lo, 1, v28
	v_lshl_or_b32 v11, v11, 9, 0x7c00
	v_cndmask_b32_e32 v9, v38, v9, vcc_lo
	v_cmp_gt_i32_e32 vcc_lo, 1, v19
	v_and_b32_e32 v30, 7, v9
	v_cndmask_b32_e32 v8, v34, v8, vcc_lo
	v_cmp_ne_u32_e32 vcc_lo, v22, v36
	v_lshrrev_b32_e32 v9, 2, v9
	v_cmp_eq_u32_e64 s0, 3, v30
	v_and_b32_e32 v33, 7, v8
	v_cndmask_b32_e64 v22, 0, 1, vcc_lo
	v_cmp_lt_i32_e32 vcc_lo, 5, v30
	v_lshrrev_b32_e32 v8, 2, v8
	v_cmp_lt_i32_e64 s1, 5, v33
	v_cmp_eq_u32_e64 s2, 3, v33
	s_or_b32 vcc_lo, s0, vcc_lo
	v_or_b32_e32 v22, v39, v22
	v_add_co_ci_u32_e32 v9, vcc_lo, 0, v9, vcc_lo
	s_or_b32 vcc_lo, s2, s1
	s_mul_hi_u32 s2, s8, 0xb00
	v_add_co_ci_u32_e32 v8, vcc_lo, 0, v8, vcc_lo
	v_cmp_gt_i32_e32 vcc_lo, 31, v28
	v_cndmask_b32_e32 v9, 0x7c00, v9, vcc_lo
	v_cmp_gt_i32_e32 vcc_lo, 1, v29
	v_cndmask_b32_e32 v22, v31, v22, vcc_lo
	;; [unrolled: 2-line block ×3, first 2 shown]
	v_cmp_eq_u32_e32 vcc_lo, 0x40f, v28
	v_and_b32_e32 v28, 7, v22
	v_cndmask_b32_e32 v9, v9, v11, vcc_lo
	v_cmp_eq_u32_e32 vcc_lo, 0x40f, v19
	v_lshrrev_b32_e32 v11, v32, v37
	v_cmp_eq_u32_e64 s0, 3, v28
	v_cndmask_b32_e32 v6, v8, v6, vcc_lo
	v_and_or_b32 v8, 0x8000, v12, v9
	v_lshlrev_b32_e32 v9, v32, v11
	v_cmp_lt_i32_e32 vcc_lo, 5, v28
	v_add_nc_u32_e32 v12, 0xfffffc10, v21
	v_and_or_b32 v6, 0x8000, v7, v6
	v_and_b32_e32 v7, 0xffff, v8
	v_lshrrev_b32_e32 v8, 2, v22
	v_cmp_ne_u32_e64 s1, v9, v37
	s_or_b32 vcc_lo, s0, vcc_lo
	v_lshl_or_b32 v19, v6, 16, v7
	v_add_co_ci_u32_e32 v8, vcc_lo, 0, v8, vcc_lo
	v_cndmask_b32_e64 v9, 0, 1, s1
	v_cmp_ne_u32_e32 vcc_lo, 0, v2
	v_lshl_or_b32 v7, v12, 12, v20
	v_or_b32_e32 v6, v11, v9
	v_cndmask_b32_e64 v2, 0, 1, vcc_lo
	v_cmp_gt_i32_e32 vcc_lo, 1, v12
	v_lshl_or_b32 v2, v2, 9, 0x7c00
	v_cndmask_b32_e32 v11, v7, v6, vcc_lo
	v_cvt_f64_f32_e32 v[6:7], v4
	v_cmp_gt_i32_e32 vcc_lo, 31, v29
	v_and_b32_e32 v21, 7, v11
	v_cndmask_b32_e32 v4, 0x7c00, v8, vcc_lo
	v_lshlrev_b64 v[8:9], 2, v[13:14]
	v_and_or_b32 v13, 0x1ff, v16, v15
	v_cmp_eq_u32_e32 vcc_lo, 0x40f, v29
	v_cmp_eq_u32_e64 s0, 3, v21
	v_bfe_u32 v14, v16, 20, 11
	v_cmp_ne_u32_e64 s1, 0, v13
	v_cndmask_b32_e32 v2, v4, v2, vcc_lo
	v_cmp_lt_i32_e32 vcc_lo, 5, v21
	v_lshrrev_b32_e32 v4, 2, v11
	v_lshrrev_b32_e32 v13, 8, v16
	v_cndmask_b32_e64 v11, 0, 1, s1
	s_or_b32 vcc_lo, s0, vcc_lo
	s_mul_i32 s0, s9, 0xb00
	v_add_co_ci_u32_e32 v4, vcc_lo, 0, v4, vcc_lo
	v_cmp_ne_u32_e32 vcc_lo, 0, v20
	v_mul_f64 v[6:7], v[6:7], s[6:7]
	v_and_or_b32 v11, 0xffe, v13, v11
	v_sub_nc_u32_e32 v13, 0x3f1, v14
	v_add_nc_u32_e32 v14, 0xfffffc10, v14
	v_cndmask_b32_e64 v15, 0, 1, vcc_lo
	v_cmp_gt_i32_e32 vcc_lo, 31, v12
	v_or_b32_e32 v20, 0x1000, v11
	v_med3_i32 v13, v13, 0, 13
	s_add_i32 s2, s2, s0
	v_lshl_or_b32 v15, v15, 9, 0x7c00
	v_cndmask_b32_e32 v4, 0x7c00, v4, vcc_lo
	v_cmp_eq_u32_e32 vcc_lo, 0x40f, v12
	v_lshrrev_b32_e32 v12, v13, v20
	v_cndmask_b32_e32 v4, v4, v15, vcc_lo
	v_add_co_u32 v15, vcc_lo, s4, v8
	v_add_co_ci_u32_e32 v21, vcc_lo, s5, v9, vcc_lo
	v_lshlrev_b32_e32 v9, v13, v12
	v_and_or_b32 v8, 0x8000, v3, v2
	v_and_or_b32 v6, 0x1ff, v7, v6
	;; [unrolled: 1-line block ×3, first 2 shown]
	v_lshrrev_b32_e32 v10, 16, v5
	v_cmp_ne_u32_e32 vcc_lo, v9, v20
	v_and_b32_e32 v13, 0xffff, v8
	v_lshlrev_b64 v[2:3], 2, v[17:18]
	v_lshrrev_b32_e32 v17, 8, v7
	v_mul_f16_sdwa v9, v27, v10 dst_sel:DWORD dst_unused:UNUSED_PAD src0_sel:WORD_1 src1_sel:DWORD
	v_cndmask_b32_e64 v8, 0, 1, vcc_lo
	v_cmp_ne_u32_e32 vcc_lo, 0, v6
	v_bfe_u32 v18, v7, 20, 11
	v_lshl_or_b32 v13, v4, 16, v13
	v_fmac_f16_e32 v9, v27, v5
	v_or_b32_e32 v8, v12, v8
	v_cndmask_b32_e64 v6, 0, 1, vcc_lo
	v_lshl_or_b32 v12, v14, 12, v11
	v_cmp_gt_i32_e32 vcc_lo, 1, v14
	v_cvt_f32_f16_e32 v9, v9
	v_mul_f16_sdwa v5, v27, v5 dst_sel:DWORD dst_unused:UNUSED_PAD src0_sel:WORD_1 src1_sel:DWORD
	v_and_or_b32 v6, 0xffe, v17, v6
	v_sub_nc_u32_e32 v17, 0x3f1, v18
	v_cndmask_b32_e32 v12, v12, v8, vcc_lo
	v_cvt_f64_f32_e32 v[8:9], v9
	v_add_co_u32 v2, vcc_lo, v15, v2
	v_or_b32_e32 v20, 0x1000, v6
	v_med3_i32 v17, v17, 0, 13
	v_and_b32_e32 v4, 7, v12
	v_add_co_ci_u32_e32 v3, vcc_lo, v21, v3, vcc_lo
	v_fma_f16 v5, v27, v10, -v5
	v_lshrrev_b32_e32 v15, v17, v20
	v_cmp_lt_i32_e32 vcc_lo, 5, v4
	v_cmp_eq_u32_e64 s0, 3, v4
	v_lshrrev_b32_e32 v4, 2, v12
	v_cvt_f32_f16_e32 v5, v5
	v_lshlrev_b32_e32 v17, v17, v15
	global_store_dword v[2:3], v19, off
	s_or_b32 vcc_lo, s0, vcc_lo
	s_mul_i32 s5, s8, 0xfffff7c0
	v_add_co_ci_u32_e32 v4, vcc_lo, 0, v4, vcc_lo
	v_cmp_ne_u32_e64 s1, v17, v20
	v_add_nc_u32_e32 v17, 0xfffffc10, v18
	v_cmp_ne_u32_e32 vcc_lo, 0, v11
	v_mul_f64 v[8:9], v[8:9], s[6:7]
	v_cndmask_b32_e64 v12, 0, 1, s1
	s_mul_hi_u32 s1, s8, 0xfffff7c0
	v_cndmask_b32_e64 v11, 0, 1, vcc_lo
	v_cmp_gt_i32_e32 vcc_lo, 1, v17
	s_sub_i32 s4, s1, s8
	v_or_b32_e32 v12, v15, v12
	v_lshl_or_b32 v15, v17, 12, v6
	v_lshl_or_b32 v10, v11, 9, 0x7c00
	v_cndmask_b32_e32 v12, v15, v12, vcc_lo
	v_cmp_gt_i32_e32 vcc_lo, 31, v14
	v_lshrrev_b32_e32 v15, 16, v16
	v_and_b32_e32 v11, 7, v12
	v_cndmask_b32_e32 v4, 0x7c00, v4, vcc_lo
	v_cmp_eq_u32_e32 vcc_lo, 0x40f, v14
	v_lshrrev_b32_e32 v12, 2, v12
	v_and_or_b32 v8, 0x1ff, v9, v8
	v_cmp_eq_u32_e64 s0, 3, v11
	v_bfe_u32 v16, v9, 20, 11
	v_cndmask_b32_e32 v14, v4, v10, vcc_lo
	v_cvt_f64_f32_e32 v[4:5], v5
	v_cmp_lt_i32_e32 vcc_lo, 5, v11
	ds_read2_b32 v[10:11], v1 offset0:32 offset1:208
	v_and_or_b32 v14, 0x8000, v15, v14
	v_lshrrev_b32_e32 v15, 16, v7
	s_or_b32 vcc_lo, s0, vcc_lo
	s_mul_i32 s0, s9, 0xfffff7c0
	v_add_co_ci_u32_e32 v1, vcc_lo, 0, v12, vcc_lo
	v_cmp_ne_u32_e32 vcc_lo, 0, v6
	v_lshrrev_b32_e32 v12, 8, v9
	v_and_b32_e32 v14, 0xffff, v14
	s_add_i32 s4, s4, s0
	v_lshrrev_b32_e32 v9, 16, v9
	v_cndmask_b32_e64 v6, 0, 1, vcc_lo
	v_cmp_ne_u32_e32 vcc_lo, 0, v8
	v_lshl_or_b32 v6, v6, 9, 0x7c00
	v_cndmask_b32_e64 v8, 0, 1, vcc_lo
	v_mul_f64 v[4:5], v[4:5], s[6:7]
	v_cmp_gt_i32_e32 vcc_lo, 31, v17
	s_waitcnt lgkmcnt(0)
	v_lshrrev_b32_e32 v18, 16, v10
	v_and_or_b32 v8, 0xffe, v12, v8
	v_sub_nc_u32_e32 v12, 0x3f1, v16
	v_cndmask_b32_e32 v1, 0x7c00, v1, vcc_lo
	v_cmp_eq_u32_e32 vcc_lo, 0x40f, v17
	v_mul_f16_sdwa v20, v26, v18 dst_sel:DWORD dst_unused:UNUSED_PAD src0_sel:WORD_1 src1_sel:DWORD
	v_or_b32_e32 v17, 0x1000, v8
	v_med3_i32 v12, v12, 0, 13
	v_cndmask_b32_e32 v1, v1, v6, vcc_lo
	v_add_co_u32 v6, vcc_lo, v2, s3
	v_lshrrev_b32_e32 v21, v12, v17
	v_fmac_f16_e32 v20, v26, v10
	v_and_or_b32 v1, 0x8000, v15, v1
	v_add_co_ci_u32_e32 v7, vcc_lo, s2, v3, vcc_lo
	v_lshlrev_b32_e32 v2, v12, v21
	v_and_or_b32 v4, 0x1ff, v5, v4
	v_lshl_or_b32 v12, v1, 16, v14
	v_cvt_f32_f16_e32 v1, v20
	v_cmp_ne_u32_e32 vcc_lo, v2, v17
	v_add_nc_u32_e32 v14, 0xfffffc10, v16
	global_store_dword v[6:7], v13, off
	v_lshrrev_b32_e32 v15, 8, v5
	v_cvt_f64_f32_e32 v[1:2], v1
	v_cndmask_b32_e64 v3, 0, 1, vcc_lo
	v_cmp_ne_u32_e32 vcc_lo, 0, v4
	v_lshl_or_b32 v13, v14, 12, v8
	v_bfe_u32 v16, v5, 20, 11
	v_lshrrev_b32_e32 v5, 16, v5
	v_or_b32_e32 v3, v21, v3
	v_cndmask_b32_e64 v4, 0, 1, vcc_lo
	v_cmp_gt_i32_e32 vcc_lo, 1, v14
	v_and_or_b32 v15, 0xffe, v15, v4
	v_cndmask_b32_e32 v13, v13, v3, vcc_lo
	v_sub_nc_u32_e32 v3, 0x3f1, v16
	v_add_nc_u32_e32 v16, 0xfffffc10, v16
	v_or_b32_e32 v19, 0x1000, v15
	v_and_b32_e32 v17, 7, v13
	v_med3_i32 v20, v3, 0, 13
	v_add_co_u32 v3, vcc_lo, v6, s5
	v_add_co_ci_u32_e32 v4, vcc_lo, s4, v7, vcc_lo
	v_lshrrev_b32_e32 v21, v20, v19
	v_cmp_lt_i32_e32 vcc_lo, 5, v17
	v_cmp_eq_u32_e64 s0, 3, v17
	v_mul_f64 v[1:2], v[1:2], s[6:7]
	v_lshrrev_b32_e32 v7, 2, v13
	v_mul_f16_sdwa v6, v26, v10 dst_sel:DWORD dst_unused:UNUSED_PAD src0_sel:WORD_1 src1_sel:DWORD
	v_lshlrev_b32_e32 v10, v20, v21
	s_or_b32 vcc_lo, s0, vcc_lo
	global_store_dword v[3:4], v12, off
	v_add_co_ci_u32_e32 v17, vcc_lo, 0, v7, vcc_lo
	v_cmp_ne_u32_e32 vcc_lo, v10, v19
	v_fma_f16 v6, v26, v18, -v6
	v_add_co_u32 v3, s1, v3, s3
	v_add_co_ci_u32_e64 v4, s1, s2, v4, s1
	v_cndmask_b32_e64 v10, 0, 1, vcc_lo
	v_cmp_ne_u32_e32 vcc_lo, 0, v8
	v_cvt_f32_f16_e32 v12, v6
	ds_read2_b32 v[6:7], v0 offset0:32 offset1:208
	v_or_b32_e32 v0, v21, v10
	v_cndmask_b32_e64 v8, 0, 1, vcc_lo
	v_cmp_gt_i32_e32 vcc_lo, 31, v14
	v_cvt_f64_f32_e32 v[12:13], v12
	v_lshl_or_b32 v10, v16, 12, v15
	v_and_or_b32 v1, 0x1ff, v2, v1
	v_lshl_or_b32 v8, v8, 9, 0x7c00
	v_cndmask_b32_e32 v17, 0x7c00, v17, vcc_lo
	v_cmp_gt_i32_e32 vcc_lo, 1, v16
	v_bfe_u32 v18, v2, 20, 11
	v_cndmask_b32_e32 v10, v10, v0, vcc_lo
	v_cmp_ne_u32_e32 vcc_lo, 0, v1
	v_lshrrev_b32_e32 v1, 8, v2
	v_sub_nc_u32_e32 v19, 0x3f1, v18
	v_lshrrev_b32_e32 v2, 16, v2
	s_waitcnt lgkmcnt(0)
	v_lshrrev_b32_e32 v20, 16, v6
	v_cndmask_b32_e64 v0, 0, 1, vcc_lo
	v_cmp_eq_u32_e32 vcc_lo, 0x40f, v14
	v_and_b32_e32 v14, 7, v10
	v_cndmask_b32_e32 v8, v17, v8, vcc_lo
	v_and_or_b32 v17, 0xffe, v1, v0
	v_cmp_lt_i32_e32 vcc_lo, 5, v14
	v_cmp_eq_u32_e64 s0, 3, v14
	v_mul_f64 v[0:1], v[12:13], s[6:7]
	v_and_or_b32 v14, 0x8000, v9, v8
	v_lshrrev_b32_e32 v8, 2, v10
	v_or_b32_e32 v21, 0x1000, v17
	v_med3_i32 v12, v19, 0, 13
	v_mul_f16_sdwa v13, v25, v20 dst_sel:DWORD dst_unused:UNUSED_PAD src0_sel:WORD_1 src1_sel:DWORD
	s_or_b32 vcc_lo, s0, vcc_lo
	v_and_b32_e32 v14, 0xffff, v14
	v_add_co_ci_u32_e32 v8, vcc_lo, 0, v8, vcc_lo
	v_lshrrev_b32_e32 v10, v12, v21
	v_cmp_ne_u32_e32 vcc_lo, 0, v15
	v_fmac_f16_e32 v13, v25, v6
	v_mul_f16_sdwa v6, v25, v6 dst_sel:DWORD dst_unused:UNUSED_PAD src0_sel:WORD_1 src1_sel:DWORD
	v_lshlrev_b32_e32 v12, v12, v10
	v_cndmask_b32_e64 v9, 0, 1, vcc_lo
	v_cmp_gt_i32_e32 vcc_lo, 31, v16
	v_cvt_f32_f16_e32 v13, v13
	v_lshl_or_b32 v19, v9, 9, 0x7c00
	v_cndmask_b32_e32 v15, 0x7c00, v8, vcc_lo
	v_cmp_ne_u32_e32 vcc_lo, v12, v21
	v_cvt_f64_f32_e32 v[8:9], v13
	v_and_or_b32 v0, 0x1ff, v1, v0
	v_add_nc_u32_e32 v13, 0xfffffc10, v18
	v_bfe_u32 v18, v1, 20, 11
	v_cndmask_b32_e64 v12, 0, 1, vcc_lo
	v_cmp_eq_u32_e32 vcc_lo, 0x40f, v16
	v_lshrrev_b32_e32 v16, 8, v1
	v_or_b32_e32 v10, v10, v12
	v_cndmask_b32_e32 v15, v15, v19, vcc_lo
	v_cmp_ne_u32_e32 vcc_lo, 0, v0
	v_lshl_or_b32 v12, v13, 12, v17
	v_and_or_b32 v5, 0x8000, v5, v15
	v_cndmask_b32_e64 v0, 0, 1, vcc_lo
	v_cmp_gt_i32_e32 vcc_lo, 1, v13
	v_lshl_or_b32 v14, v5, 16, v14
	v_and_or_b32 v0, 0xffe, v16, v0
	v_cndmask_b32_e32 v10, v12, v10, vcc_lo
	v_sub_nc_u32_e32 v12, 0x3f1, v18
	v_mul_f64 v[8:9], v[8:9], s[6:7]
	v_fma_f16 v5, v25, v20, -v6
	v_or_b32_e32 v16, 0x1000, v0
	v_and_b32_e32 v15, 7, v10
	v_med3_i32 v12, v12, 0, 13
	v_lshrrev_b32_e32 v6, 2, v10
	v_cvt_f32_f16_e32 v5, v5
	v_cmp_lt_i32_e32 vcc_lo, 5, v15
	v_cmp_eq_u32_e64 s0, 3, v15
	v_lshrrev_b32_e32 v15, v12, v16
	s_or_b32 vcc_lo, s0, vcc_lo
	v_lshlrev_b32_e32 v10, v12, v15
	v_add_co_ci_u32_e32 v12, vcc_lo, 0, v6, vcc_lo
	v_cvt_f64_f32_e32 v[5:6], v5
	v_cmp_ne_u32_e32 vcc_lo, v10, v16
	v_add_nc_u32_e32 v16, 0xfffffc10, v18
	v_and_or_b32 v8, 0x1ff, v9, v8
	v_lshrrev_b32_e32 v18, 8, v9
	v_bfe_u32 v19, v9, 20, 11
	v_cndmask_b32_e64 v10, 0, 1, vcc_lo
	v_cmp_gt_i32_e32 vcc_lo, 31, v13
	v_or_b32_e32 v10, v15, v10
	v_cndmask_b32_e32 v12, 0x7c00, v12, vcc_lo
	v_cmp_ne_u32_e32 vcc_lo, 0, v8
	v_lshl_or_b32 v15, v16, 12, v0
	v_cndmask_b32_e64 v8, 0, 1, vcc_lo
	v_cmp_ne_u32_e32 vcc_lo, 0, v17
	v_mul_f64 v[5:6], v[5:6], s[6:7]
	v_and_or_b32 v8, 0xffe, v18, v8
	v_cndmask_b32_e64 v17, 0, 1, vcc_lo
	v_cmp_gt_i32_e32 vcc_lo, 1, v16
	v_lshrrev_b32_e32 v18, 16, v11
	v_or_b32_e32 v21, 0x1000, v8
	v_lshl_or_b32 v17, v17, 9, 0x7c00
	v_cndmask_b32_e32 v10, v15, v10, vcc_lo
	v_sub_nc_u32_e32 v15, 0x3f1, v19
	v_cmp_eq_u32_e32 vcc_lo, 0x40f, v13
	v_mul_f16_sdwa v22, v24, v18 dst_sel:DWORD dst_unused:UNUSED_PAD src0_sel:WORD_1 src1_sel:DWORD
	v_add_nc_u32_e32 v19, 0xfffffc10, v19
	v_and_b32_e32 v20, 7, v10
	v_med3_i32 v15, v15, 0, 13
	v_cndmask_b32_e32 v12, v12, v17, vcc_lo
	v_lshrrev_b32_e32 v10, 2, v10
	v_fmac_f16_e32 v22, v24, v11
	v_cmp_lt_i32_e32 vcc_lo, 5, v20
	v_lshrrev_b32_e32 v17, v15, v21
	v_cmp_eq_u32_e64 s0, 3, v20
	v_and_or_b32 v2, 0x8000, v2, v12
	v_cvt_f32_f16_e32 v13, v22
	v_and_or_b32 v5, 0x1ff, v6, v5
	v_lshlrev_b32_e32 v12, v15, v17
	s_or_b32 vcc_lo, s0, vcc_lo
	v_bfe_u32 v20, v6, 20, 11
	v_add_co_ci_u32_e32 v10, vcc_lo, 0, v10, vcc_lo
	v_cmp_ne_u32_e32 vcc_lo, v12, v21
	v_cvt_f64_f32_e32 v[12:13], v13
	v_and_b32_e32 v2, 0xffff, v2
	v_mul_f16_sdwa v11, v24, v11 dst_sel:DWORD dst_unused:UNUSED_PAD src0_sel:WORD_1 src1_sel:DWORD
	v_cndmask_b32_e64 v15, 0, 1, vcc_lo
	v_cmp_ne_u32_e32 vcc_lo, 0, v0
	v_fma_f16 v11, v24, v18, -v11
	v_lshrrev_b32_e32 v18, 16, v9
	v_or_b32_e32 v15, v17, v15
	v_cndmask_b32_e64 v0, 0, 1, vcc_lo
	v_cmp_gt_i32_e32 vcc_lo, 31, v16
	v_lshl_or_b32 v17, v19, 12, v8
	v_lshl_or_b32 v0, v0, 9, 0x7c00
	v_cndmask_b32_e32 v10, 0x7c00, v10, vcc_lo
	v_cmp_gt_i32_e32 vcc_lo, 1, v19
	v_cndmask_b32_e32 v15, v17, v15, vcc_lo
	v_cmp_ne_u32_e32 vcc_lo, 0, v5
	v_lshrrev_b32_e32 v17, 8, v6
	v_and_b32_e32 v21, 7, v15
	v_cndmask_b32_e64 v5, 0, 1, vcc_lo
	v_cmp_eq_u32_e32 vcc_lo, 0x40f, v16
	v_sub_nc_u32_e32 v16, 0x3f1, v20
	v_lshrrev_b32_e32 v15, 2, v15
	v_cmp_eq_u32_e64 s0, 3, v21
	v_and_or_b32 v5, 0xffe, v17, v5
	v_cndmask_b32_e32 v10, v10, v0, vcc_lo
	v_cmp_lt_i32_e32 vcc_lo, 5, v21
	v_lshrrev_b32_e32 v17, 16, v1
	v_mul_f64 v[0:1], v[12:13], s[6:7]
	v_or_b32_e32 v12, 0x1000, v5
	v_med3_i32 v13, v16, 0, 13
	s_or_b32 vcc_lo, s0, vcc_lo
	v_and_or_b32 v10, 0x8000, v17, v10
	v_add_co_ci_u32_e32 v15, vcc_lo, 0, v15, vcc_lo
	v_lshrrev_b32_e32 v16, v13, v12
	v_cmp_ne_u32_e32 vcc_lo, 0, v8
	v_lshl_or_b32 v2, v10, 16, v2
	v_lshlrev_b32_e32 v10, v13, v16
	v_cndmask_b32_e64 v8, 0, 1, vcc_lo
	v_cmp_gt_i32_e32 vcc_lo, 31, v19
	v_lshl_or_b32 v8, v8, 9, 0x7c00
	v_cndmask_b32_e32 v13, 0x7c00, v15, vcc_lo
	v_cmp_ne_u32_e32 vcc_lo, v10, v12
	v_add_nc_u32_e32 v15, 0xfffffc10, v20
	v_and_or_b32 v0, 0x1ff, v1, v0
	v_bfe_u32 v17, v1, 20, 11
	v_cndmask_b32_e64 v10, 0, 1, vcc_lo
	v_cmp_eq_u32_e32 vcc_lo, 0x40f, v19
	v_cndmask_b32_e32 v12, v13, v8, vcc_lo
	v_cmp_ne_u32_e32 vcc_lo, 0, v0
	v_or_b32_e32 v8, v16, v10
	v_cvt_f32_f16_e32 v10, v11
	v_lshl_or_b32 v13, v15, 12, v5
	v_lshrrev_b32_e32 v16, 8, v1
	v_cndmask_b32_e64 v0, 0, 1, vcc_lo
	v_cmp_gt_i32_e32 vcc_lo, 1, v15
	v_cvt_f64_f32_e32 v[10:11], v10
	v_and_or_b32 v18, 0x8000, v18, v12
	v_lshrrev_b32_e32 v1, 16, v1
	v_and_or_b32 v0, 0xffe, v16, v0
	v_cndmask_b32_e32 v13, v13, v8, vcc_lo
	v_sub_nc_u32_e32 v8, 0x3f1, v17
	v_lshrrev_b32_e32 v16, 16, v7
	v_add_nc_u32_e32 v17, 0xfffffc10, v17
	v_or_b32_e32 v20, 0x1000, v0
	v_and_b32_e32 v19, 7, v13
	v_med3_i32 v21, v8, 0, 13
	v_mul_f16_sdwa v22, v23, v16 dst_sel:DWORD dst_unused:UNUSED_PAD src0_sel:WORD_1 src1_sel:DWORD
	v_add_co_u32 v8, vcc_lo, v3, s5
	v_add_co_ci_u32_e32 v9, vcc_lo, s4, v4, vcc_lo
	v_lshrrev_b32_e32 v24, v21, v20
	v_fmac_f16_e32 v22, v23, v7
	v_cmp_lt_i32_e32 vcc_lo, 5, v19
	v_cmp_eq_u32_e64 s0, 3, v19
	v_lshrrev_b32_e32 v12, 2, v13
	v_lshlrev_b32_e32 v19, v21, v24
	v_cvt_f32_f16_e32 v13, v22
	v_mul_f64 v[10:11], v[10:11], s[6:7]
	s_or_b32 vcc_lo, s0, vcc_lo
	v_mul_f16_sdwa v7, v23, v7 dst_sel:DWORD dst_unused:UNUSED_PAD src0_sel:WORD_1 src1_sel:DWORD
	v_add_co_ci_u32_e32 v21, vcc_lo, 0, v12, vcc_lo
	v_cmp_ne_u32_e32 vcc_lo, v19, v20
	v_cvt_f64_f32_e32 v[12:13], v13
	v_lshl_or_b32 v20, v17, 12, v0
	v_fma_f16 v7, v23, v16, -v7
	v_cndmask_b32_e64 v19, 0, 1, vcc_lo
	v_cmp_ne_u32_e32 vcc_lo, 0, v5
	v_cvt_f32_f16_e32 v7, v7
	v_or_b32_e32 v19, v24, v19
	v_cndmask_b32_e64 v5, 0, 1, vcc_lo
	v_cmp_gt_i32_e32 vcc_lo, 31, v15
	v_lshl_or_b32 v5, v5, 9, 0x7c00
	v_cndmask_b32_e32 v16, 0x7c00, v21, vcc_lo
	v_cmp_gt_i32_e32 vcc_lo, 1, v17
	v_and_or_b32 v10, 0x1ff, v11, v10
	v_bfe_u32 v21, v11, 20, 11
	v_cndmask_b32_e32 v19, v20, v19, vcc_lo
	v_cmp_eq_u32_e32 vcc_lo, 0x40f, v15
	v_mul_f64 v[12:13], v[12:13], s[6:7]
	v_lshrrev_b32_e32 v20, 8, v11
	v_lshrrev_b32_e32 v11, 16, v11
	v_cndmask_b32_e32 v15, v16, v5, vcc_lo
	v_lshrrev_b32_e32 v16, 16, v6
	v_cvt_f64_f32_e32 v[5:6], v7
	v_cmp_ne_u32_e32 vcc_lo, 0, v10
	v_and_b32_e32 v7, 7, v19
	v_and_or_b32 v15, 0x8000, v16, v15
	v_and_b32_e32 v16, 0xffff, v18
	v_cndmask_b32_e64 v10, 0, 1, vcc_lo
	v_cmp_lt_i32_e32 vcc_lo, 5, v7
	v_cmp_eq_u32_e64 s0, 3, v7
	v_sub_nc_u32_e32 v18, 0x3f1, v21
	v_lshl_or_b32 v7, v15, 16, v16
	v_lshrrev_b32_e32 v15, 2, v19
	v_and_or_b32 v10, 0xffe, v20, v10
	s_or_b32 vcc_lo, s0, vcc_lo
	v_med3_i32 v18, v18, 0, 13
	v_add_co_ci_u32_e32 v15, vcc_lo, 0, v15, vcc_lo
	v_or_b32_e32 v16, 0x1000, v10
	v_cmp_ne_u32_e32 vcc_lo, 0, v0
	v_and_or_b32 v12, 0x1ff, v13, v12
	v_lshrrev_b32_e32 v20, 8, v13
	v_mul_f64 v[5:6], v[5:6], s[6:7]
	v_lshrrev_b32_e32 v19, v18, v16
	v_cndmask_b32_e64 v0, 0, 1, vcc_lo
	v_cmp_gt_i32_e32 vcc_lo, 31, v17
	v_bfe_u32 v22, v13, 20, 11
	v_lshrrev_b32_e32 v13, 16, v13
	v_lshlrev_b32_e32 v18, v18, v19
	v_lshl_or_b32 v0, v0, 9, 0x7c00
	v_cndmask_b32_e32 v15, 0x7c00, v15, vcc_lo
	v_cmp_ne_u32_e32 vcc_lo, 0, v12
	v_cndmask_b32_e64 v12, 0, 1, vcc_lo
	v_cmp_ne_u32_e32 vcc_lo, v18, v16
	v_add_nc_u32_e32 v18, 0xfffffc10, v21
	v_and_or_b32 v12, 0xffe, v20, v12
	v_cndmask_b32_e64 v16, 0, 1, vcc_lo
	v_sub_nc_u32_e32 v20, 0x3f1, v22
	v_cmp_eq_u32_e32 vcc_lo, 0x40f, v17
	v_and_or_b32 v5, 0x1ff, v6, v5
	v_or_b32_e32 v17, 0x1000, v12
	v_bfe_u32 v21, v6, 20, 11
	v_cndmask_b32_e32 v0, v15, v0, vcc_lo
	v_or_b32_e32 v15, v19, v16
	v_lshl_or_b32 v16, v18, 12, v10
	v_med3_i32 v19, v20, 0, 13
	v_cmp_gt_i32_e32 vcc_lo, 1, v18
	v_lshrrev_b32_e32 v20, 8, v6
	v_and_or_b32 v0, 0x8000, v1, v0
	v_lshrrev_b32_e32 v6, 16, v6
	v_cndmask_b32_e32 v15, v16, v15, vcc_lo
	v_lshrrev_b32_e32 v16, v19, v17
	v_cmp_ne_u32_e32 vcc_lo, 0, v5
	v_and_b32_e32 v23, 7, v15
	v_lshlrev_b32_e32 v19, v19, v16
	v_cndmask_b32_e64 v5, 0, 1, vcc_lo
	v_lshrrev_b32_e32 v15, 2, v15
	v_cmp_lt_i32_e32 vcc_lo, 5, v23
	v_cmp_ne_u32_e64 s0, v19, v17
	v_and_or_b32 v1, 0xffe, v20, v5
	v_sub_nc_u32_e32 v5, 0x3f1, v21
	v_add_nc_u32_e32 v20, 0xfffffc10, v22
	v_cndmask_b32_e64 v17, 0, 1, s0
	v_cmp_eq_u32_e64 s0, 3, v23
	v_or_b32_e32 v19, 0x1000, v1
	v_med3_i32 v5, v5, 0, 13
	v_lshl_or_b32 v22, v20, 12, v12
	v_or_b32_e32 v16, v16, v17
	s_or_b32 vcc_lo, s0, vcc_lo
	v_add_co_ci_u32_e32 v15, vcc_lo, 0, v15, vcc_lo
	v_lshrrev_b32_e32 v17, v5, v19
	v_cmp_gt_i32_e32 vcc_lo, 1, v20
	v_lshlrev_b32_e32 v5, v5, v17
	v_cndmask_b32_e32 v16, v22, v16, vcc_lo
	v_cmp_ne_u32_e32 vcc_lo, 0, v10
	v_cndmask_b32_e64 v10, 0, 1, vcc_lo
	v_cmp_ne_u32_e32 vcc_lo, v5, v19
	v_add_nc_u32_e32 v19, 0xfffffc10, v21
	v_and_b32_e32 v21, 7, v16
	v_lshl_or_b32 v10, v10, 9, 0x7c00
	v_cndmask_b32_e64 v5, 0, 1, vcc_lo
	v_cmp_gt_i32_e32 vcc_lo, 31, v18
	v_cmp_gt_i32_e64 s1, 1, v19
	v_cmp_eq_u32_e64 s0, 3, v21
	v_or_b32_e32 v5, v17, v5
	v_lshl_or_b32 v17, v19, 12, v1
	v_cndmask_b32_e32 v15, 0x7c00, v15, vcc_lo
	v_cmp_lt_i32_e32 vcc_lo, 5, v21
	v_cndmask_b32_e64 v5, v17, v5, s1
	v_cmp_eq_u32_e64 s1, 0x40f, v18
	s_or_b32 vcc_lo, s0, vcc_lo
	v_cndmask_b32_e64 v10, v15, v10, s1
	v_lshrrev_b32_e32 v15, 2, v16
	v_and_b32_e32 v16, 7, v5
	v_lshrrev_b32_e32 v5, 2, v5
	v_cmp_gt_i32_e64 s1, 31, v20
	v_and_or_b32 v10, 0x8000, v11, v10
	v_add_co_ci_u32_e32 v15, vcc_lo, 0, v15, vcc_lo
	v_cmp_ne_u32_e32 vcc_lo, 0, v12
	v_cmp_eq_u32_e64 s0, 3, v16
	v_and_b32_e32 v11, 0xffff, v0
	v_cndmask_b32_e64 v15, 0x7c00, v15, s1
	v_cndmask_b32_e64 v12, 0, 1, vcc_lo
	v_cmp_lt_i32_e32 vcc_lo, 5, v16
	v_lshl_or_b32 v12, v12, 9, 0x7c00
	s_or_b32 vcc_lo, s0, vcc_lo
	v_add_co_ci_u32_e32 v5, vcc_lo, 0, v5, vcc_lo
	v_cmp_ne_u32_e32 vcc_lo, 0, v1
	v_cndmask_b32_e64 v1, 0, 1, vcc_lo
	v_cmp_eq_u32_e32 vcc_lo, 0x40f, v20
	v_lshl_or_b32 v1, v1, 9, 0x7c00
	v_cndmask_b32_e32 v12, v15, v12, vcc_lo
	v_cmp_gt_i32_e32 vcc_lo, 31, v19
	v_and_or_b32 v12, 0x8000, v13, v12
	v_cndmask_b32_e32 v5, 0x7c00, v5, vcc_lo
	v_cmp_eq_u32_e32 vcc_lo, 0x40f, v19
	v_lshl_or_b32 v13, v10, 16, v11
	v_and_b32_e32 v11, 0xffff, v12
	v_cndmask_b32_e32 v5, v5, v1, vcc_lo
	v_add_co_u32 v0, vcc_lo, v8, s3
	v_add_co_ci_u32_e32 v1, vcc_lo, s2, v9, vcc_lo
	v_and_or_b32 v10, 0x8000, v6, v5
	v_add_co_u32 v5, vcc_lo, v0, s5
	v_add_co_ci_u32_e32 v6, vcc_lo, s4, v1, vcc_lo
	v_lshl_or_b32 v12, v10, 16, v11
	v_add_co_u32 v10, vcc_lo, v5, s3
	v_add_co_ci_u32_e32 v11, vcc_lo, s2, v6, vcc_lo
	global_store_dword v[3:4], v14, off
	global_store_dword v[8:9], v2, off
	global_store_dword v[0:1], v7, off
	global_store_dword v[5:6], v13, off
	global_store_dword v[10:11], v12, off
.LBB0_10:
	s_endpgm
	.section	.rodata,"a",@progbits
	.p2align	6, 0x0
	.amdhsa_kernel bluestein_single_fwd_len1408_dim1_half_op_CI_CI
		.amdhsa_group_segment_fixed_size 5632
		.amdhsa_private_segment_fixed_size 0
		.amdhsa_kernarg_size 104
		.amdhsa_user_sgpr_count 6
		.amdhsa_user_sgpr_private_segment_buffer 1
		.amdhsa_user_sgpr_dispatch_ptr 0
		.amdhsa_user_sgpr_queue_ptr 0
		.amdhsa_user_sgpr_kernarg_segment_ptr 1
		.amdhsa_user_sgpr_dispatch_id 0
		.amdhsa_user_sgpr_flat_scratch_init 0
		.amdhsa_user_sgpr_private_segment_size 0
		.amdhsa_wavefront_size32 1
		.amdhsa_uses_dynamic_stack 0
		.amdhsa_system_sgpr_private_segment_wavefront_offset 0
		.amdhsa_system_sgpr_workgroup_id_x 1
		.amdhsa_system_sgpr_workgroup_id_y 0
		.amdhsa_system_sgpr_workgroup_id_z 0
		.amdhsa_system_sgpr_workgroup_info 0
		.amdhsa_system_vgpr_workitem_id 0
		.amdhsa_next_free_vgpr 183
		.amdhsa_next_free_sgpr 20
		.amdhsa_reserve_vcc 1
		.amdhsa_reserve_flat_scratch 0
		.amdhsa_float_round_mode_32 0
		.amdhsa_float_round_mode_16_64 0
		.amdhsa_float_denorm_mode_32 3
		.amdhsa_float_denorm_mode_16_64 3
		.amdhsa_dx10_clamp 1
		.amdhsa_ieee_mode 1
		.amdhsa_fp16_overflow 0
		.amdhsa_workgroup_processor_mode 1
		.amdhsa_memory_ordered 1
		.amdhsa_forward_progress 0
		.amdhsa_shared_vgpr_count 0
		.amdhsa_exception_fp_ieee_invalid_op 0
		.amdhsa_exception_fp_denorm_src 0
		.amdhsa_exception_fp_ieee_div_zero 0
		.amdhsa_exception_fp_ieee_overflow 0
		.amdhsa_exception_fp_ieee_underflow 0
		.amdhsa_exception_fp_ieee_inexact 0
		.amdhsa_exception_int_div_zero 0
	.end_amdhsa_kernel
	.text
.Lfunc_end0:
	.size	bluestein_single_fwd_len1408_dim1_half_op_CI_CI, .Lfunc_end0-bluestein_single_fwd_len1408_dim1_half_op_CI_CI
                                        ; -- End function
	.section	.AMDGPU.csdata,"",@progbits
; Kernel info:
; codeLenInByte = 16976
; NumSgprs: 22
; NumVgprs: 183
; ScratchSize: 0
; MemoryBound: 0
; FloatMode: 240
; IeeeMode: 1
; LDSByteSize: 5632 bytes/workgroup (compile time only)
; SGPRBlocks: 2
; VGPRBlocks: 22
; NumSGPRsForWavesPerEU: 22
; NumVGPRsForWavesPerEU: 183
; Occupancy: 5
; WaveLimiterHint : 1
; COMPUTE_PGM_RSRC2:SCRATCH_EN: 0
; COMPUTE_PGM_RSRC2:USER_SGPR: 6
; COMPUTE_PGM_RSRC2:TRAP_HANDLER: 0
; COMPUTE_PGM_RSRC2:TGID_X_EN: 1
; COMPUTE_PGM_RSRC2:TGID_Y_EN: 0
; COMPUTE_PGM_RSRC2:TGID_Z_EN: 0
; COMPUTE_PGM_RSRC2:TIDIG_COMP_CNT: 0
	.text
	.p2alignl 6, 3214868480
	.fill 48, 4, 3214868480
	.type	__hip_cuid_ff90d801a8237869,@object ; @__hip_cuid_ff90d801a8237869
	.section	.bss,"aw",@nobits
	.globl	__hip_cuid_ff90d801a8237869
__hip_cuid_ff90d801a8237869:
	.byte	0                               ; 0x0
	.size	__hip_cuid_ff90d801a8237869, 1

	.ident	"AMD clang version 19.0.0git (https://github.com/RadeonOpenCompute/llvm-project roc-6.4.0 25133 c7fe45cf4b819c5991fe208aaa96edf142730f1d)"
	.section	".note.GNU-stack","",@progbits
	.addrsig
	.addrsig_sym __hip_cuid_ff90d801a8237869
	.amdgpu_metadata
---
amdhsa.kernels:
  - .args:
      - .actual_access:  read_only
        .address_space:  global
        .offset:         0
        .size:           8
        .value_kind:     global_buffer
      - .actual_access:  read_only
        .address_space:  global
        .offset:         8
        .size:           8
        .value_kind:     global_buffer
      - .actual_access:  read_only
        .address_space:  global
        .offset:         16
        .size:           8
        .value_kind:     global_buffer
      - .actual_access:  read_only
        .address_space:  global
        .offset:         24
        .size:           8
        .value_kind:     global_buffer
      - .actual_access:  read_only
        .address_space:  global
        .offset:         32
        .size:           8
        .value_kind:     global_buffer
      - .offset:         40
        .size:           8
        .value_kind:     by_value
      - .address_space:  global
        .offset:         48
        .size:           8
        .value_kind:     global_buffer
      - .address_space:  global
        .offset:         56
        .size:           8
        .value_kind:     global_buffer
      - .address_space:  global
        .offset:         64
        .size:           8
        .value_kind:     global_buffer
      - .address_space:  global
        .offset:         72
        .size:           8
        .value_kind:     global_buffer
      - .offset:         80
        .size:           4
        .value_kind:     by_value
      - .address_space:  global
        .offset:         88
        .size:           8
        .value_kind:     global_buffer
      - .address_space:  global
        .offset:         96
        .size:           8
        .value_kind:     global_buffer
    .group_segment_fixed_size: 5632
    .kernarg_segment_align: 8
    .kernarg_segment_size: 104
    .language:       OpenCL C
    .language_version:
      - 2
      - 0
    .max_flat_workgroup_size: 176
    .name:           bluestein_single_fwd_len1408_dim1_half_op_CI_CI
    .private_segment_fixed_size: 0
    .sgpr_count:     22
    .sgpr_spill_count: 0
    .symbol:         bluestein_single_fwd_len1408_dim1_half_op_CI_CI.kd
    .uniform_work_group_size: 1
    .uses_dynamic_stack: false
    .vgpr_count:     183
    .vgpr_spill_count: 0
    .wavefront_size: 32
    .workgroup_processor_mode: 1
amdhsa.target:   amdgcn-amd-amdhsa--gfx1030
amdhsa.version:
  - 1
  - 2
...

	.end_amdgpu_metadata
